;; amdgpu-corpus repo=ROCm/rocFFT kind=compiled arch=gfx906 opt=O3
	.text
	.amdgcn_target "amdgcn-amd-amdhsa--gfx906"
	.amdhsa_code_object_version 6
	.protected	fft_rtc_back_len3750_factors_3_5_5_10_5_wgs_125_tpt_125_halfLds_half_op_CI_CI_unitstride_sbrr_R2C_dirReg ; -- Begin function fft_rtc_back_len3750_factors_3_5_5_10_5_wgs_125_tpt_125_halfLds_half_op_CI_CI_unitstride_sbrr_R2C_dirReg
	.globl	fft_rtc_back_len3750_factors_3_5_5_10_5_wgs_125_tpt_125_halfLds_half_op_CI_CI_unitstride_sbrr_R2C_dirReg
	.p2align	8
	.type	fft_rtc_back_len3750_factors_3_5_5_10_5_wgs_125_tpt_125_halfLds_half_op_CI_CI_unitstride_sbrr_R2C_dirReg,@function
fft_rtc_back_len3750_factors_3_5_5_10_5_wgs_125_tpt_125_halfLds_half_op_CI_CI_unitstride_sbrr_R2C_dirReg: ; @fft_rtc_back_len3750_factors_3_5_5_10_5_wgs_125_tpt_125_halfLds_half_op_CI_CI_unitstride_sbrr_R2C_dirReg
; %bb.0:
	s_load_dwordx4 s[8:11], s[4:5], 0x58
	s_load_dwordx4 s[12:15], s[4:5], 0x0
	;; [unrolled: 1-line block ×3, first 2 shown]
	v_mul_u32_u24_e32 v1, 0x20d, v0
	v_add_u32_sdwa v5, s6, v1 dst_sel:DWORD dst_unused:UNUSED_PAD src0_sel:DWORD src1_sel:WORD_1
	v_mov_b32_e32 v3, 0
	s_waitcnt lgkmcnt(0)
	v_cmp_lt_u64_e64 s[0:1], s[14:15], 2
	v_mov_b32_e32 v1, 0
	v_mov_b32_e32 v6, v3
	s_and_b64 vcc, exec, s[0:1]
	v_mov_b32_e32 v2, 0
	s_cbranch_vccnz .LBB0_8
; %bb.1:
	s_load_dwordx2 s[0:1], s[4:5], 0x10
	s_add_u32 s2, s18, 8
	s_addc_u32 s3, s19, 0
	s_add_u32 s6, s16, 8
	v_mov_b32_e32 v1, 0
	s_addc_u32 s7, s17, 0
	v_mov_b32_e32 v2, 0
	s_waitcnt lgkmcnt(0)
	s_add_u32 s20, s0, 8
	v_mov_b32_e32 v17, v2
	s_addc_u32 s21, s1, 0
	s_mov_b64 s[22:23], 1
	v_mov_b32_e32 v16, v1
.LBB0_2:                                ; =>This Inner Loop Header: Depth=1
	s_load_dwordx2 s[24:25], s[20:21], 0x0
                                        ; implicit-def: $vgpr22_vgpr23
	s_waitcnt lgkmcnt(0)
	v_or_b32_e32 v4, s25, v6
	v_cmp_ne_u64_e32 vcc, 0, v[3:4]
	s_and_saveexec_b64 s[0:1], vcc
	s_xor_b64 s[26:27], exec, s[0:1]
	s_cbranch_execz .LBB0_4
; %bb.3:                                ;   in Loop: Header=BB0_2 Depth=1
	v_cvt_f32_u32_e32 v4, s24
	v_cvt_f32_u32_e32 v7, s25
	s_sub_u32 s0, 0, s24
	s_subb_u32 s1, 0, s25
	v_mac_f32_e32 v4, 0x4f800000, v7
	v_rcp_f32_e32 v4, v4
	v_mul_f32_e32 v4, 0x5f7ffffc, v4
	v_mul_f32_e32 v7, 0x2f800000, v4
	v_trunc_f32_e32 v7, v7
	v_mac_f32_e32 v4, 0xcf800000, v7
	v_cvt_u32_f32_e32 v7, v7
	v_cvt_u32_f32_e32 v4, v4
	v_mul_lo_u32 v8, s0, v7
	v_mul_hi_u32 v9, s0, v4
	v_mul_lo_u32 v11, s1, v4
	v_mul_lo_u32 v10, s0, v4
	v_add_u32_e32 v8, v9, v8
	v_add_u32_e32 v8, v8, v11
	v_mul_hi_u32 v9, v4, v10
	v_mul_lo_u32 v11, v4, v8
	v_mul_hi_u32 v13, v4, v8
	v_mul_hi_u32 v12, v7, v10
	v_mul_lo_u32 v10, v7, v10
	v_mul_hi_u32 v14, v7, v8
	v_add_co_u32_e32 v9, vcc, v9, v11
	v_addc_co_u32_e32 v11, vcc, 0, v13, vcc
	v_mul_lo_u32 v8, v7, v8
	v_add_co_u32_e32 v9, vcc, v9, v10
	v_addc_co_u32_e32 v9, vcc, v11, v12, vcc
	v_addc_co_u32_e32 v10, vcc, 0, v14, vcc
	v_add_co_u32_e32 v8, vcc, v9, v8
	v_addc_co_u32_e32 v9, vcc, 0, v10, vcc
	v_add_co_u32_e32 v4, vcc, v4, v8
	v_addc_co_u32_e32 v7, vcc, v7, v9, vcc
	v_mul_lo_u32 v8, s0, v7
	v_mul_hi_u32 v9, s0, v4
	v_mul_lo_u32 v10, s1, v4
	v_mul_lo_u32 v11, s0, v4
	v_add_u32_e32 v8, v9, v8
	v_add_u32_e32 v8, v8, v10
	v_mul_lo_u32 v12, v4, v8
	v_mul_hi_u32 v13, v4, v11
	v_mul_hi_u32 v14, v4, v8
	v_mul_hi_u32 v10, v7, v11
	v_mul_lo_u32 v11, v7, v11
	v_mul_hi_u32 v9, v7, v8
	v_add_co_u32_e32 v12, vcc, v13, v12
	v_addc_co_u32_e32 v13, vcc, 0, v14, vcc
	v_mul_lo_u32 v8, v7, v8
	v_add_co_u32_e32 v11, vcc, v12, v11
	v_addc_co_u32_e32 v10, vcc, v13, v10, vcc
	v_addc_co_u32_e32 v9, vcc, 0, v9, vcc
	v_add_co_u32_e32 v8, vcc, v10, v8
	v_addc_co_u32_e32 v9, vcc, 0, v9, vcc
	v_add_co_u32_e32 v4, vcc, v4, v8
	v_addc_co_u32_e32 v9, vcc, v7, v9, vcc
	v_mad_u64_u32 v[7:8], s[0:1], v5, v9, 0
	v_mul_hi_u32 v10, v5, v4
	v_add_co_u32_e32 v11, vcc, v10, v7
	v_addc_co_u32_e32 v12, vcc, 0, v8, vcc
	v_mad_u64_u32 v[7:8], s[0:1], v6, v4, 0
	v_mad_u64_u32 v[9:10], s[0:1], v6, v9, 0
	v_add_co_u32_e32 v4, vcc, v11, v7
	v_addc_co_u32_e32 v4, vcc, v12, v8, vcc
	v_addc_co_u32_e32 v7, vcc, 0, v10, vcc
	v_add_co_u32_e32 v4, vcc, v4, v9
	v_addc_co_u32_e32 v9, vcc, 0, v7, vcc
	v_mul_lo_u32 v10, s25, v4
	v_mul_lo_u32 v11, s24, v9
	v_mad_u64_u32 v[7:8], s[0:1], s24, v4, 0
	v_add3_u32 v8, v8, v11, v10
	v_sub_u32_e32 v10, v6, v8
	v_mov_b32_e32 v11, s25
	v_sub_co_u32_e32 v7, vcc, v5, v7
	v_subb_co_u32_e64 v10, s[0:1], v10, v11, vcc
	v_subrev_co_u32_e64 v11, s[0:1], s24, v7
	v_subbrev_co_u32_e64 v10, s[0:1], 0, v10, s[0:1]
	v_cmp_le_u32_e64 s[0:1], s25, v10
	v_cndmask_b32_e64 v12, 0, -1, s[0:1]
	v_cmp_le_u32_e64 s[0:1], s24, v11
	v_cndmask_b32_e64 v11, 0, -1, s[0:1]
	v_cmp_eq_u32_e64 s[0:1], s25, v10
	v_cndmask_b32_e64 v10, v12, v11, s[0:1]
	v_add_co_u32_e64 v11, s[0:1], 2, v4
	v_addc_co_u32_e64 v12, s[0:1], 0, v9, s[0:1]
	v_add_co_u32_e64 v13, s[0:1], 1, v4
	v_addc_co_u32_e64 v14, s[0:1], 0, v9, s[0:1]
	v_subb_co_u32_e32 v8, vcc, v6, v8, vcc
	v_cmp_ne_u32_e64 s[0:1], 0, v10
	v_cmp_le_u32_e32 vcc, s25, v8
	v_cndmask_b32_e64 v10, v14, v12, s[0:1]
	v_cndmask_b32_e64 v12, 0, -1, vcc
	v_cmp_le_u32_e32 vcc, s24, v7
	v_cndmask_b32_e64 v7, 0, -1, vcc
	v_cmp_eq_u32_e32 vcc, s25, v8
	v_cndmask_b32_e32 v7, v12, v7, vcc
	v_cmp_ne_u32_e32 vcc, 0, v7
	v_cndmask_b32_e64 v7, v13, v11, s[0:1]
	v_cndmask_b32_e32 v23, v9, v10, vcc
	v_cndmask_b32_e32 v22, v4, v7, vcc
.LBB0_4:                                ;   in Loop: Header=BB0_2 Depth=1
	s_andn2_saveexec_b64 s[0:1], s[26:27]
	s_cbranch_execz .LBB0_6
; %bb.5:                                ;   in Loop: Header=BB0_2 Depth=1
	v_cvt_f32_u32_e32 v4, s24
	s_sub_i32 s26, 0, s24
	v_mov_b32_e32 v23, v3
	v_rcp_iflag_f32_e32 v4, v4
	v_mul_f32_e32 v4, 0x4f7ffffe, v4
	v_cvt_u32_f32_e32 v4, v4
	v_mul_lo_u32 v7, s26, v4
	v_mul_hi_u32 v7, v4, v7
	v_add_u32_e32 v4, v4, v7
	v_mul_hi_u32 v4, v5, v4
	v_mul_lo_u32 v7, v4, s24
	v_add_u32_e32 v8, 1, v4
	v_sub_u32_e32 v7, v5, v7
	v_subrev_u32_e32 v9, s24, v7
	v_cmp_le_u32_e32 vcc, s24, v7
	v_cndmask_b32_e32 v7, v7, v9, vcc
	v_cndmask_b32_e32 v4, v4, v8, vcc
	v_add_u32_e32 v8, 1, v4
	v_cmp_le_u32_e32 vcc, s24, v7
	v_cndmask_b32_e32 v22, v4, v8, vcc
.LBB0_6:                                ;   in Loop: Header=BB0_2 Depth=1
	s_or_b64 exec, exec, s[0:1]
	v_mul_lo_u32 v4, v23, s24
	v_mul_lo_u32 v9, v22, s25
	v_mad_u64_u32 v[7:8], s[0:1], v22, s24, 0
	s_load_dwordx2 s[0:1], s[6:7], 0x0
	s_load_dwordx2 s[24:25], s[2:3], 0x0
	v_add3_u32 v4, v8, v9, v4
	v_sub_co_u32_e32 v5, vcc, v5, v7
	v_subb_co_u32_e32 v4, vcc, v6, v4, vcc
	s_waitcnt lgkmcnt(0)
	v_mul_lo_u32 v6, s0, v4
	v_mul_lo_u32 v7, s1, v5
	v_mad_u64_u32 v[1:2], s[0:1], s0, v5, v[1:2]
	v_mul_lo_u32 v4, s24, v4
	v_mul_lo_u32 v8, s25, v5
	v_mad_u64_u32 v[16:17], s[0:1], s24, v5, v[16:17]
	s_add_u32 s22, s22, 1
	s_addc_u32 s23, s23, 0
	s_add_u32 s2, s2, 8
	v_add3_u32 v17, v8, v17, v4
	s_addc_u32 s3, s3, 0
	v_mov_b32_e32 v4, s14
	s_add_u32 s6, s6, 8
	v_mov_b32_e32 v5, s15
	s_addc_u32 s7, s7, 0
	v_cmp_ge_u64_e32 vcc, s[22:23], v[4:5]
	s_add_u32 s20, s20, 8
	v_add3_u32 v2, v7, v2, v6
	s_addc_u32 s21, s21, 0
	s_cbranch_vccnz .LBB0_9
; %bb.7:                                ;   in Loop: Header=BB0_2 Depth=1
	v_mov_b32_e32 v5, v22
	v_mov_b32_e32 v6, v23
	s_branch .LBB0_2
.LBB0_8:
	v_mov_b32_e32 v17, v2
	v_mov_b32_e32 v23, v6
	;; [unrolled: 1-line block ×4, first 2 shown]
.LBB0_9:
	s_load_dwordx2 s[4:5], s[4:5], 0x28
	s_lshl_b64 s[6:7], s[14:15], 3
	s_add_u32 s2, s18, s6
	s_addc_u32 s3, s19, s7
                                        ; implicit-def: $vgpr18
                                        ; implicit-def: $vgpr20
                                        ; implicit-def: $vgpr31
                                        ; implicit-def: $vgpr30
                                        ; implicit-def: $vgpr25
                                        ; implicit-def: $vgpr27
                                        ; implicit-def: $vgpr29
                                        ; implicit-def: $vgpr24
	s_waitcnt lgkmcnt(0)
	v_cmp_gt_u64_e64 s[0:1], s[4:5], v[22:23]
	v_cmp_le_u64_e32 vcc, s[4:5], v[22:23]
	s_and_saveexec_b64 s[4:5], vcc
	s_xor_b64 s[4:5], exec, s[4:5]
; %bb.10:
	s_mov_b32 s14, 0x20c49bb
	v_mul_hi_u32 v1, v0, s14
	v_mul_u32_u24_e32 v1, 0x7d, v1
	v_sub_u32_e32 v18, v0, v1
	v_add_u32_e32 v20, 0x7d, v18
	v_add_u32_e32 v31, 0xfa, v18
	;; [unrolled: 1-line block ×7, first 2 shown]
                                        ; implicit-def: $vgpr0
                                        ; implicit-def: $vgpr1_vgpr2
; %bb.11:
	s_andn2_saveexec_b64 s[4:5], s[4:5]
	s_cbranch_execz .LBB0_13
; %bb.12:
	s_add_u32 s6, s16, s6
	s_addc_u32 s7, s17, s7
	s_load_dwordx2 s[6:7], s[6:7], 0x0
	s_mov_b32 s14, 0x20c49bb
	v_mul_hi_u32 v5, v0, s14
	s_waitcnt lgkmcnt(0)
	v_mul_lo_u32 v6, s7, v22
	v_mul_lo_u32 v7, s6, v23
	v_mad_u64_u32 v[3:4], s[6:7], s6, v22, 0
	v_mul_u32_u24_e32 v5, 0x7d, v5
	v_sub_u32_e32 v18, v0, v5
	v_add3_u32 v4, v4, v7, v6
	v_lshlrev_b64 v[3:4], 2, v[3:4]
	v_mov_b32_e32 v0, s9
	v_add_co_u32_e32 v3, vcc, s8, v3
	v_addc_co_u32_e32 v4, vcc, v0, v4, vcc
	v_lshlrev_b64 v[0:1], 2, v[1:2]
	v_lshlrev_b32_e32 v8, 2, v18
	v_add_co_u32_e32 v0, vcc, v3, v0
	v_addc_co_u32_e32 v1, vcc, v4, v1, vcc
	v_add_co_u32_e32 v0, vcc, v0, v8
	v_addc_co_u32_e32 v1, vcc, 0, v1, vcc
	s_movk_i32 s6, 0x1000
	v_add_co_u32_e32 v2, vcc, s6, v0
	s_movk_i32 s7, 0x2000
	v_addc_co_u32_e32 v3, vcc, 0, v1, vcc
	global_load_dword v9, v[0:1], off
	global_load_dword v10, v[0:1], off offset:500
	global_load_dword v11, v[0:1], off offset:1000
	;; [unrolled: 1-line block ×7, first 2 shown]
	v_add_co_u32_e32 v4, vcc, s7, v0
	v_addc_co_u32_e32 v5, vcc, 0, v1, vcc
	global_load_dword v21, v[0:1], off offset:4000
	global_load_dword v24, v[2:3], off offset:404
	;; [unrolled: 1-line block ×14, first 2 shown]
	v_add_co_u32_e32 v6, vcc, 0x3000, v0
	v_addc_co_u32_e32 v7, vcc, 0, v1, vcc
	global_load_dword v0, v[4:5], off offset:2808
	global_load_dword v1, v[4:5], off offset:3308
	;; [unrolled: 1-line block ×8, first 2 shown]
	v_add_u32_e32 v4, 0, v8
	v_add_u32_e32 v5, 0x200, v4
	;; [unrolled: 1-line block ×16, first 2 shown]
	s_waitcnt vmcnt(28)
	ds_write2_b32 v4, v9, v10 offset1:125
	s_waitcnt vmcnt(26)
	ds_write2_b32 v5, v11, v12 offset0:122 offset1:247
	s_waitcnt vmcnt(24)
	ds_write2_b32 v6, v13, v14 offset0:116 offset1:241
	;; [unrolled: 2-line block ×9, first 2 shown]
	v_add_u32_e32 v5, 0x2600, v4
	s_waitcnt vmcnt(8)
	ds_write2_b32 v5, v40, v41 offset0:68 offset1:193
	v_add_u32_e32 v5, 0x2a00, v4
	s_waitcnt vmcnt(6)
	ds_write2_b32 v5, v0, v1 offset0:62 offset1:187
	;; [unrolled: 3-line block ×3, first 2 shown]
	v_add_u32_e32 v0, 0x3200, v4
	v_add_u32_e32 v24, 0x465, v18
	s_waitcnt vmcnt(2)
	ds_write2_b32 v0, v42, v43 offset0:50 offset1:175
	v_add_u32_e32 v0, 0x3600, v4
	s_waitcnt vmcnt(0)
	ds_write2_b32 v0, v44, v45 offset0:44 offset1:169
.LBB0_13:
	s_or_b64 exec, exec, s[4:5]
	v_lshlrev_b32_e32 v32, 2, v18
	v_add_u32_e32 v37, 0, v32
	v_add_u32_e32 v0, 0xa00, v37
	;; [unrolled: 1-line block ×3, first 2 shown]
	s_load_dwordx2 s[2:3], s[2:3], 0x0
	s_waitcnt lgkmcnt(0)
	s_barrier
	ds_read2_b32 v[0:1], v0 offset0:110 offset1:235
	ds_read2_b32 v[2:3], v61 offset0:80 offset1:205
	v_add_u32_e32 v60, 0x3200, v37
	ds_read2_b32 v[4:5], v60 offset0:50 offset1:175
	v_add_u32_e32 v67, 0x600, v37
	v_add_u32_e32 v64, 0x2e00, v37
	s_waitcnt lgkmcnt(1)
	v_pk_add_f16 v6, v1, v3
	v_add_u32_e32 v65, 0x1a00, v37
	s_waitcnt lgkmcnt(0)
	v_pk_add_f16 v15, v6, v5
	v_pk_add_f16 v19, v3, v5
	v_pk_add_f16 v21, v3, v5 neg_lo:[0,1] neg_hi:[0,1]
	ds_read2_b32 v[5:6], v67 offset0:116 offset1:241
	ds_read2_b32 v[7:8], v65 offset0:86 offset1:211
	;; [unrolled: 1-line block ×3, first 2 shown]
	v_pk_add_f16 v3, v0, v2
	v_pk_add_f16 v35, v3, v4
	;; [unrolled: 1-line block ×3, first 2 shown]
	v_pk_add_f16 v4, v2, v4 neg_lo:[0,1] neg_hi:[0,1]
	v_add_u32_e32 v2, 0x200, v37
	v_add_u32_e32 v73, 0x1600, v37
	s_waitcnt lgkmcnt(1)
	v_pk_add_f16 v13, v6, v8
	v_pk_add_f16 v14, v5, v7
	s_waitcnt lgkmcnt(0)
	v_pk_add_f16 v38, v7, v9
	v_pk_add_f16 v39, v7, v9 neg_lo:[0,1] neg_hi:[0,1]
	v_pk_add_f16 v42, v8, v10
	v_pk_add_f16 v43, v8, v10 neg_lo:[0,1] neg_hi:[0,1]
	ds_read2_b32 v[2:3], v2 offset0:122 offset1:247
	ds_read2_b32 v[7:8], v73 offset0:92 offset1:217
	v_add_u32_e32 v63, 0x2a00, v37
	ds_read2_b32 v[11:12], v63 offset0:62 offset1:187
	v_pk_add_f16 v44, v13, v10
	v_pk_add_f16 v45, v14, v9
	v_add_u32_e32 v72, 0x1200, v37
	v_add_u32_e32 v66, 0x2600, v37
	ds_read2_b32 v[9:10], v37 offset1:125
	ds_read2_b32 v[13:14], v72 offset0:98 offset1:223
	ds_read2_b32 v[33:34], v66 offset0:68 offset1:193
	s_waitcnt lgkmcnt(4)
	v_pk_add_f16 v28, v2, v7
	v_pk_add_f16 v26, v3, v8
	s_waitcnt lgkmcnt(3)
	v_pk_add_f16 v40, v7, v11
	v_pk_add_f16 v41, v7, v11 neg_lo:[0,1] neg_hi:[0,1]
	v_pk_add_f16 v46, v8, v12
	v_pk_add_f16 v47, v8, v12 neg_lo:[0,1] neg_hi:[0,1]
	v_pk_add_f16 v49, v28, v11
	s_waitcnt lgkmcnt(1)
	v_pk_add_f16 v7, v9, v13
	s_waitcnt lgkmcnt(0)
	v_pk_add_f16 v8, v13, v33
	v_pk_add_f16 v11, v13, v33 neg_lo:[0,1] neg_hi:[0,1]
	s_movk_i32 s4, 0x3aee
	v_pk_add_f16 v33, v7, v33
	v_pk_fma_f16 v7, v8, 0.5, v9 op_sel_hi:[1,0,1] neg_lo:[1,0,0] neg_hi:[1,0,0]
	v_pk_mul_f16 v8, v11, s4 op_sel_hi:[1,0]
	v_pk_add_f16 v9, v7, v8 op_sel:[0,1] op_sel_hi:[1,0] neg_lo:[0,1] neg_hi:[0,1]
	v_pk_add_f16 v50, v7, v8 op_sel:[0,1] op_sel_hi:[1,0]
	s_mov_b32 s5, 0xffff
	v_pk_add_f16 v48, v26, v12
	v_pk_add_f16 v12, v10, v14
	;; [unrolled: 1-line block ×3, first 2 shown]
	v_pk_add_f16 v28, v14, v34 neg_lo:[0,1] neg_hi:[0,1]
	v_add_u32_e32 v7, 0xe00, v37
	v_add_u32_e32 v71, 0x2200, v37
	v_mad_u32_u24 v51, v18, 12, 0
	v_bfi_b32 v52, s5, v9, v50
	v_bfi_b32 v9, s5, v50, v9
	v_pk_add_f16 v34, v12, v34
	ds_read2_b32 v[7:8], v7 offset0:104 offset1:229
	v_add_u32_e32 v62, 0x3600, v37
	ds_read2_b32 v[11:12], v71 offset0:74 offset1:199
	ds_read2_b32 v[13:14], v62 offset0:44 offset1:169
	s_waitcnt lgkmcnt(0)
	s_barrier
	v_pk_fma_f16 v10, v26, 0.5, v10 op_sel_hi:[1,0,1] neg_lo:[1,0,0] neg_hi:[1,0,0]
	ds_write_b32 v51, v9 offset:8
	v_pk_mul_f16 v9, v28, s4 op_sel_hi:[1,0]
	v_pk_add_f16 v28, v10, v9 op_sel:[0,1] op_sel_hi:[1,0] neg_lo:[0,1] neg_hi:[0,1]
	v_pk_add_f16 v9, v10, v9 op_sel:[0,1] op_sel_hi:[1,0]
	v_mad_i32_i24 v26, v20, 12, 0
	v_bfi_b32 v10, s5, v28, v9
	v_bfi_b32 v9, s5, v9, v28
	ds_write2_b32 v51, v33, v52 offset1:1
	ds_write_b32 v26, v9 offset:8
	v_pk_fma_f16 v2, v40, 0.5, v2 op_sel_hi:[1,0,1] neg_lo:[1,0,0] neg_hi:[1,0,0]
	v_pk_mul_f16 v9, v41, s4 op_sel_hi:[1,0]
	ds_write2_b32 v26, v34, v10 offset1:1
	v_pk_add_f16 v10, v2, v9 op_sel:[0,1] op_sel_hi:[1,0] neg_lo:[0,1] neg_hi:[0,1]
	v_pk_add_f16 v2, v2, v9 op_sel:[0,1] op_sel_hi:[1,0]
	v_mad_i32_i24 v28, v31, 12, 0
	v_bfi_b32 v9, s5, v10, v2
	v_bfi_b32 v2, s5, v2, v10
	v_pk_fma_f16 v3, v46, 0.5, v3 op_sel_hi:[1,0,1] neg_lo:[1,0,0] neg_hi:[1,0,0]
	ds_write_b32 v28, v2 offset:8
	v_pk_mul_f16 v2, v47, s4 op_sel_hi:[1,0]
	ds_write2_b32 v28, v49, v9 offset1:1
	v_pk_add_f16 v9, v3, v2 op_sel:[0,1] op_sel_hi:[1,0] neg_lo:[0,1] neg_hi:[0,1]
	v_pk_add_f16 v2, v3, v2 op_sel:[0,1] op_sel_hi:[1,0]
	v_mad_i32_i24 v41, v30, 12, 0
	v_bfi_b32 v3, s5, v9, v2
	v_bfi_b32 v2, s5, v2, v9
	ds_write2_b32 v41, v48, v3 offset1:1
	ds_write_b32 v41, v2 offset:8
	v_pk_fma_f16 v2, v38, 0.5, v5 op_sel_hi:[1,0,1] neg_lo:[1,0,0] neg_hi:[1,0,0]
	v_pk_mul_f16 v3, v39, s4 op_sel_hi:[1,0]
	v_pk_add_f16 v5, v2, v3 op_sel:[0,1] op_sel_hi:[1,0] neg_lo:[0,1] neg_hi:[0,1]
	v_pk_add_f16 v2, v2, v3 op_sel:[0,1] op_sel_hi:[1,0]
	v_mad_i32_i24 v40, v25, 12, 0
	v_bfi_b32 v3, s5, v5, v2
	v_bfi_b32 v2, s5, v2, v5
	ds_write2_b32 v40, v45, v3 offset1:1
	v_pk_fma_f16 v3, v42, 0.5, v6 op_sel_hi:[1,0,1] neg_lo:[1,0,0] neg_hi:[1,0,0]
	ds_write_b32 v40, v2 offset:8
	v_pk_mul_f16 v2, v43, s4 op_sel_hi:[1,0]
	v_pk_add_f16 v5, v3, v2 op_sel:[0,1] op_sel_hi:[1,0] neg_lo:[0,1] neg_hi:[0,1]
	v_pk_add_f16 v2, v3, v2 op_sel:[0,1] op_sel_hi:[1,0]
	v_mad_i32_i24 v39, v27, 12, 0
	v_bfi_b32 v3, s5, v5, v2
	v_bfi_b32 v2, s5, v2, v5
	v_pk_fma_f16 v0, v36, 0.5, v0 op_sel_hi:[1,0,1] neg_lo:[1,0,0] neg_hi:[1,0,0]
	ds_write_b32 v39, v2 offset:8
	v_pk_mul_f16 v2, v4, s4 op_sel_hi:[1,0]
	ds_write2_b32 v39, v44, v3 offset1:1
	v_pk_add_f16 v3, v0, v2 op_sel:[0,1] op_sel_hi:[1,0] neg_lo:[0,1] neg_hi:[0,1]
	v_pk_add_f16 v0, v0, v2 op_sel:[0,1] op_sel_hi:[1,0]
	v_mad_i32_i24 v38, v29, 12, 0
	v_bfi_b32 v2, s5, v3, v0
	v_pk_fma_f16 v1, v19, 0.5, v1 op_sel_hi:[1,0,1] neg_lo:[1,0,0] neg_hi:[1,0,0]
	ds_write2_b32 v38, v35, v2 offset1:1
	v_pk_mul_f16 v2, v21, s4 op_sel_hi:[1,0]
	v_pk_add_f16 v4, v1, v2 op_sel:[0,1] op_sel_hi:[1,0] neg_lo:[0,1] neg_hi:[0,1]
	v_pk_add_f16 v1, v1, v2 op_sel:[0,1] op_sel_hi:[1,0]
	v_bfi_b32 v0, s5, v0, v3
	ds_write_b32 v38, v0 offset:8
	v_add_u32_e32 v0, 0x2904, v51
	v_bfi_b32 v2, s5, v4, v1
	ds_write2_b32 v0, v15, v2 offset1:1
	v_pk_add_f16 v0, v11, v13
	v_pk_add_f16 v2, v11, v13 neg_lo:[0,1] neg_hi:[0,1]
	v_pk_fma_f16 v0, v0, 0.5, v7 op_sel_hi:[1,0,1] neg_lo:[1,0,0] neg_hi:[1,0,0]
	v_pk_mul_f16 v2, v2, s4 op_sel_hi:[1,0]
	v_pk_add_f16 v3, v0, v2 op_sel:[0,1] op_sel_hi:[1,0] neg_lo:[0,1] neg_hi:[0,1]
	v_pk_add_f16 v0, v0, v2 op_sel:[0,1] op_sel_hi:[1,0]
	v_pk_add_f16 v2, v7, v11
	v_pk_add_f16 v2, v2, v13
	v_add_u32_e32 v5, 0x2ee0, v51
	v_bfi_b32 v6, s5, v3, v0
	ds_write2_b32 v5, v2, v6 offset1:1
	v_pk_add_f16 v5, v12, v14
	v_pk_add_f16 v6, v12, v14 neg_lo:[0,1] neg_hi:[0,1]
	v_bfi_b32 v1, s5, v1, v4
	v_bfi_b32 v0, s5, v0, v3
	ds_write_b32 v51, v1 offset:10508
	ds_write_b32 v51, v0 offset:12008
	v_pk_fma_f16 v0, v5, 0.5, v8 op_sel_hi:[1,0,1] neg_lo:[1,0,0] neg_hi:[1,0,0]
	v_pk_mul_f16 v1, v6, s4 op_sel_hi:[1,0]
	v_pk_add_f16 v3, v0, v1 op_sel:[0,1] op_sel_hi:[1,0] neg_lo:[0,1] neg_hi:[0,1]
	v_pk_add_f16 v0, v0, v1 op_sel:[0,1] op_sel_hi:[1,0]
	v_mad_i32_i24 v1, v24, 12, 0
	v_bfi_b32 v4, s5, v3, v0
	v_bfi_b32 v0, s5, v0, v3
	s_movk_i32 s4, 0xab
	ds_write_b32 v1, v0 offset:8
	v_mul_lo_u16_sdwa v0, v20, s4 dst_sel:DWORD dst_unused:UNUSED_PAD src0_sel:BYTE_0 src1_sel:DWORD
	v_lshrrev_b16_e32 v15, 9, v0
	v_mul_lo_u16_e32 v0, 3, v15
	v_pk_add_f16 v2, v8, v12
	v_sub_u16_e32 v33, v20, v0
	v_mov_b32_e32 v8, 4
	v_pk_add_f16 v2, v2, v14
	v_lshlrev_b32_sdwa v0, v8, v33 dst_sel:DWORD dst_unused:UNUSED_PAD src0_sel:DWORD src1_sel:BYTE_0
	ds_write2_b32 v1, v2, v4 offset1:1
	s_waitcnt lgkmcnt(0)
	s_barrier
	global_load_dwordx4 v[4:7], v0, s[12:13]
	s_mov_b32 s5, 0xaaab
	v_mul_u32_u24_sdwa v0, v31, s5 dst_sel:DWORD dst_unused:UNUSED_PAD src0_sel:WORD_0 src1_sel:DWORD
	v_lshrrev_b32_e32 v13, 17, v0
	v_mul_lo_u16_e32 v0, 3, v13
	v_sub_u16_e32 v14, v31, v0
	v_lshlrev_b32_e32 v0, 4, v14
	global_load_dwordx4 v[42:45], v0, s[12:13]
	v_add_u32_e32 v51, 0xc00, v37
	ds_read2_b32 v[34:35], v51 offset0:107 offset1:232
	v_add_u32_e32 v52, 0x1800, v37
	ds_read2_b32 v[55:56], v52 offset0:89 offset1:214
	v_add_u32_e32 v54, 0x2400, v37
	ds_read2_b32 v[57:58], v54 offset0:71 offset1:196
	s_waitcnt lgkmcnt(2)
	v_lshrrev_b32_e32 v19, 16, v34
	v_mul_u32_u24_sdwa v0, v30, s5 dst_sel:DWORD dst_unused:UNUSED_PAD src0_sel:WORD_0 src1_sel:DWORD
	v_lshrrev_b32_e32 v9, 17, v0
	v_mul_lo_u16_e32 v0, 3, v9
	v_sub_u16_e32 v10, v30, v0
	v_lshlrev_b32_e32 v0, 4, v10
	global_load_dwordx4 v[46:49], v0, s[12:13]
	v_add_u32_e32 v53, 0x1000, v37
	v_add_u32_e32 v59, 0x3400, v37
	;; [unrolled: 1-line block ×3, first 2 shown]
	s_movk_i32 s7, 0x3b9c
	s_movk_i32 s8, 0x38b4
	;; [unrolled: 1-line block ×4, first 2 shown]
	s_mov_b32 s9, 0x8889
	s_mov_b32 s15, 0xb4f2
	s_waitcnt vmcnt(2)
	v_mul_f16_sdwa v21, v34, v4 dst_sel:DWORD dst_unused:UNUSED_PAD src0_sel:DWORD src1_sel:WORD_1
	v_fma_f16 v98, v19, v4, -v21
	v_mul_f16_sdwa v19, v19, v4 dst_sel:DWORD dst_unused:UNUSED_PAD src0_sel:DWORD src1_sel:WORD_1
	v_fma_f16 v100, v34, v4, v19
	s_waitcnt lgkmcnt(1)
	v_lshrrev_b32_e32 v4, 16, v55
	v_mul_f16_sdwa v19, v55, v5 dst_sel:DWORD dst_unused:UNUSED_PAD src0_sel:DWORD src1_sel:WORD_1
	v_fma_f16 v99, v4, v5, -v19
	v_mul_f16_sdwa v4, v4, v5 dst_sel:DWORD dst_unused:UNUSED_PAD src0_sel:DWORD src1_sel:WORD_1
	v_fma_f16 v103, v55, v5, v4
	v_add_u32_e32 v55, 0x3000, v37
	ds_read2_b32 v[68:69], v55 offset0:53 offset1:178
	s_waitcnt lgkmcnt(1)
	v_lshrrev_b32_e32 v4, 16, v57
	v_mul_f16_sdwa v5, v57, v6 dst_sel:DWORD dst_unused:UNUSED_PAD src0_sel:DWORD src1_sel:WORD_1
	v_fma_f16 v101, v4, v6, -v5
	v_mul_f16_sdwa v4, v4, v6 dst_sel:DWORD dst_unused:UNUSED_PAD src0_sel:DWORD src1_sel:WORD_1
	v_fma_f16 v104, v57, v6, v4
	s_waitcnt lgkmcnt(0)
	v_lshrrev_b32_e32 v4, 16, v68
	v_mul_f16_sdwa v5, v68, v7 dst_sel:DWORD dst_unused:UNUSED_PAD src0_sel:DWORD src1_sel:WORD_1
	v_fma_f16 v102, v4, v7, -v5
	v_mul_f16_sdwa v4, v4, v7 dst_sel:DWORD dst_unused:UNUSED_PAD src0_sel:DWORD src1_sel:WORD_1
	v_fma_f16 v105, v68, v7, v4
	v_lshrrev_b32_e32 v4, 16, v35
	s_waitcnt vmcnt(1)
	v_mul_f16_sdwa v5, v4, v42 dst_sel:DWORD dst_unused:UNUSED_PAD src0_sel:DWORD src1_sel:WORD_1
	v_fma_f16 v92, v35, v42, v5
	v_mul_f16_sdwa v5, v35, v42 dst_sel:DWORD dst_unused:UNUSED_PAD src0_sel:DWORD src1_sel:WORD_1
	v_fma_f16 v90, v4, v42, -v5
	v_lshrrev_b32_e32 v4, 16, v56
	v_mul_f16_sdwa v5, v4, v43 dst_sel:DWORD dst_unused:UNUSED_PAD src0_sel:DWORD src1_sel:WORD_1
	v_fma_f16 v94, v56, v43, v5
	v_mul_f16_sdwa v5, v56, v43 dst_sel:DWORD dst_unused:UNUSED_PAD src0_sel:DWORD src1_sel:WORD_1
	v_fma_f16 v91, v4, v43, -v5
	v_lshrrev_b32_e32 v4, 16, v58
	v_mul_f16_sdwa v5, v4, v44 dst_sel:DWORD dst_unused:UNUSED_PAD src0_sel:DWORD src1_sel:WORD_1
	v_fma_f16 v95, v58, v44, v5
	v_mul_f16_sdwa v5, v58, v44 dst_sel:DWORD dst_unused:UNUSED_PAD src0_sel:DWORD src1_sel:WORD_1
	v_lshrrev_b32_e32 v19, 16, v69
	v_fma_f16 v93, v4, v44, -v5
	v_mul_f16_sdwa v4, v19, v45 dst_sel:DWORD dst_unused:UNUSED_PAD src0_sel:DWORD src1_sel:WORD_1
	v_fma_f16 v97, v69, v45, v4
	v_mul_u32_u24_sdwa v4, v27, s5 dst_sel:DWORD dst_unused:UNUSED_PAD src0_sel:WORD_0 src1_sel:DWORD
	v_lshrrev_b32_e32 v34, 17, v4
	v_mul_lo_u16_e32 v4, 3, v34
	v_sub_u16_e32 v35, v27, v4
	v_lshlrev_b32_e32 v4, 4, v35
	global_load_dwordx4 v[4:7], v4, s[12:13]
	v_mul_u32_u24_sdwa v0, v25, s5 dst_sel:DWORD dst_unused:UNUSED_PAD src0_sel:WORD_0 src1_sel:DWORD
	v_lshrrev_b32_e32 v11, 17, v0
	v_mul_lo_u16_e32 v0, 3, v11
	v_sub_u16_e32 v12, v25, v0
	v_lshlrev_b32_e32 v0, 4, v12
	global_load_dwordx4 v[108:111], v0, s[12:13]
	v_mul_lo_u16_sdwa v0, v18, s4 dst_sel:DWORD dst_unused:UNUSED_PAD src0_sel:BYTE_0 src1_sel:DWORD
	v_lshrrev_b16_e32 v106, 9, v0
	v_mul_lo_u16_e32 v0, 3, v106
	v_sub_u16_e32 v107, v18, v0
	v_lshlrev_b32_sdwa v0, v8, v107 dst_sel:DWORD dst_unused:UNUSED_PAD src0_sel:DWORD src1_sel:BYTE_0
	global_load_dwordx4 v[0:3], v0, s[12:13]
	ds_read2_b32 v[42:43], v53 offset0:101 offset1:226
	v_mul_f16_sdwa v21, v69, v45 dst_sel:DWORD dst_unused:UNUSED_PAD src0_sel:DWORD src1_sel:WORD_1
	v_add_u32_e32 v56, 0x1c00, v37
	v_fma_f16 v96, v19, v45, -v21
	ds_read2_b32 v[44:45], v56 offset0:83 offset1:208
	s_waitcnt lgkmcnt(1)
	v_lshrrev_b32_e32 v19, 16, v42
	s_waitcnt vmcnt(3)
	v_mul_f16_sdwa v21, v42, v46 dst_sel:DWORD dst_unused:UNUSED_PAD src0_sel:DWORD src1_sel:WORD_1
	v_fma_f16 v82, v19, v46, -v21
	v_mul_f16_sdwa v19, v19, v46 dst_sel:DWORD dst_unused:UNUSED_PAD src0_sel:DWORD src1_sel:WORD_1
	v_add_u32_e32 v58, 0x2800, v37
	v_fma_f16 v84, v42, v46, v19
	s_waitcnt lgkmcnt(0)
	v_lshrrev_b32_e32 v19, 16, v44
	ds_read2_b32 v[68:69], v58 offset0:65 offset1:190
	v_mul_f16_sdwa v21, v44, v47 dst_sel:DWORD dst_unused:UNUSED_PAD src0_sel:DWORD src1_sel:WORD_1
	v_fma_f16 v83, v19, v47, -v21
	v_mul_f16_sdwa v19, v19, v47 dst_sel:DWORD dst_unused:UNUSED_PAD src0_sel:DWORD src1_sel:WORD_1
	v_fma_f16 v87, v44, v47, v19
	ds_read2_b32 v[46:47], v59 offset0:47 offset1:172
	s_waitcnt lgkmcnt(1)
	v_lshrrev_b32_e32 v19, 16, v68
	v_mul_f16_sdwa v21, v68, v48 dst_sel:DWORD dst_unused:UNUSED_PAD src0_sel:DWORD src1_sel:WORD_1
	v_fma_f16 v85, v19, v48, -v21
	v_mul_f16_sdwa v19, v19, v48 dst_sel:DWORD dst_unused:UNUSED_PAD src0_sel:DWORD src1_sel:WORD_1
	v_fma_f16 v88, v68, v48, v19
	s_waitcnt lgkmcnt(0)
	v_lshrrev_b32_e32 v19, 16, v46
	v_mul_f16_sdwa v21, v46, v49 dst_sel:DWORD dst_unused:UNUSED_PAD src0_sel:DWORD src1_sel:WORD_1
	v_fma_f16 v86, v19, v49, -v21
	v_mul_f16_sdwa v19, v19, v49 dst_sel:DWORD dst_unused:UNUSED_PAD src0_sel:DWORD src1_sel:WORD_1
	v_fma_f16 v89, v46, v49, v19
	v_lshrrev_b32_e32 v19, 16, v43
	v_lshlrev_b32_e32 v44, 3, v31
	v_lshlrev_b32_e32 v46, 3, v25
	v_sub_u32_e32 v49, v28, v44
	v_mul_u32_u24_e32 v106, 60, v106
	s_mov_b32 s5, 0xbb9c
	s_mov_b32 s4, 0xb8b4
	s_waitcnt vmcnt(1)
	v_mul_f16_sdwa v21, v19, v108 dst_sel:DWORD dst_unused:UNUSED_PAD src0_sel:DWORD src1_sel:WORD_1
	v_fma_f16 v76, v43, v108, v21
	v_mul_f16_sdwa v21, v43, v108 dst_sel:DWORD dst_unused:UNUSED_PAD src0_sel:DWORD src1_sel:WORD_1
	v_fma_f16 v36, v19, v108, -v21
	v_lshrrev_b32_e32 v19, 16, v45
	v_mul_f16_sdwa v21, v19, v109 dst_sel:DWORD dst_unused:UNUSED_PAD src0_sel:DWORD src1_sel:WORD_1
	v_fma_f16 v78, v45, v109, v21
	v_mul_f16_sdwa v21, v45, v109 dst_sel:DWORD dst_unused:UNUSED_PAD src0_sel:DWORD src1_sel:WORD_1
	v_fma_f16 v75, v19, v109, -v21
	v_lshrrev_b32_e32 v19, 16, v69
	;; [unrolled: 5-line block ×3, first 2 shown]
	v_mul_f16_sdwa v42, v19, v111 dst_sel:DWORD dst_unused:UNUSED_PAD src0_sel:DWORD src1_sel:WORD_1
	v_lshlrev_b32_e32 v21, 3, v29
	v_fma_f16 v81, v47, v111, v42
	v_mul_f16_sdwa v42, v47, v111 dst_sel:DWORD dst_unused:UNUSED_PAD src0_sel:DWORD src1_sel:WORD_1
	v_sub_u32_e32 v57, v38, v21
	v_fma_f16 v79, v19, v111, -v42
	v_lshlrev_b32_e32 v43, 3, v20
	v_lshlrev_b32_e32 v45, 3, v30
	;; [unrolled: 1-line block ×3, first 2 shown]
	v_sub_u32_e32 v50, v26, v43
	v_sub_u32_e32 v48, v41, v45
	;; [unrolled: 1-line block ×4, first 2 shown]
	ds_read_b32 v68, v57
	ds_read_b32 v112, v50
	;; [unrolled: 1-line block ×6, first 2 shown]
	ds_read_b32 v74, v37 offset:14500
	ds_read2_b32 v[108:109], v70 offset0:95 offset1:220
	s_waitcnt lgkmcnt(7)
	v_lshrrev_b32_e32 v69, 16, v68
	s_waitcnt vmcnt(0)
	v_mul_f16_sdwa v110, v0, v69 dst_sel:DWORD dst_unused:UNUSED_PAD src0_sel:WORD_1 src1_sel:DWORD
	v_fma_f16 v117, v0, v68, v110
	v_mul_f16_sdwa v68, v0, v68 dst_sel:DWORD dst_unused:UNUSED_PAD src0_sel:WORD_1 src1_sel:DWORD
	v_fma_f16 v118, v0, v69, -v68
	v_add_u32_e32 v69, 0x2000, v37
	s_waitcnt lgkmcnt(0)
	v_lshrrev_b32_e32 v0, 16, v109
	ds_read2_b32 v[110:111], v69 offset0:77 offset1:202
	v_mul_f16_sdwa v68, v109, v1 dst_sel:DWORD dst_unused:UNUSED_PAD src0_sel:DWORD src1_sel:WORD_1
	v_fma_f16 v119, v0, v1, -v68
	v_mul_f16_sdwa v0, v0, v1 dst_sel:DWORD dst_unused:UNUSED_PAD src0_sel:DWORD src1_sel:WORD_1
	v_add_u32_e32 v68, 0x2c00, v37
	v_fma_f16 v109, v109, v1, v0
	ds_read2_b32 v[0:1], v68 offset0:59 offset1:184
	s_waitcnt lgkmcnt(1)
	v_lshrrev_b32_e32 v120, 16, v111
	v_mul_f16_sdwa v121, v111, v2 dst_sel:DWORD dst_unused:UNUSED_PAD src0_sel:DWORD src1_sel:WORD_1
	v_fma_f16 v121, v120, v2, -v121
	v_mul_f16_sdwa v120, v120, v2 dst_sel:DWORD dst_unused:UNUSED_PAD src0_sel:DWORD src1_sel:WORD_1
	v_fma_f16 v2, v111, v2, v120
	s_waitcnt lgkmcnt(0)
	v_lshrrev_b32_e32 v111, 16, v1
	v_mul_f16_sdwa v120, v1, v3 dst_sel:DWORD dst_unused:UNUSED_PAD src0_sel:DWORD src1_sel:WORD_1
	v_fma_f16 v120, v111, v3, -v120
	v_mul_f16_sdwa v111, v111, v3 dst_sel:DWORD dst_unused:UNUSED_PAD src0_sel:DWORD src1_sel:WORD_1
	v_fma_f16 v1, v1, v3, v111
	v_lshrrev_b32_e32 v3, 16, v108
	v_mul_f16_sdwa v111, v3, v4 dst_sel:DWORD dst_unused:UNUSED_PAD src0_sel:DWORD src1_sel:WORD_1
	v_fma_f16 v111, v108, v4, v111
	v_mul_f16_sdwa v108, v108, v4 dst_sel:DWORD dst_unused:UNUSED_PAD src0_sel:DWORD src1_sel:WORD_1
	v_fma_f16 v3, v3, v4, -v108
	v_lshrrev_b32_e32 v4, 16, v110
	v_mul_f16_sdwa v108, v4, v5 dst_sel:DWORD dst_unused:UNUSED_PAD src0_sel:DWORD src1_sel:WORD_1
	v_fma_f16 v108, v110, v5, v108
	v_mul_f16_sdwa v110, v110, v5 dst_sel:DWORD dst_unused:UNUSED_PAD src0_sel:DWORD src1_sel:WORD_1
	v_fma_f16 v4, v4, v5, -v110
	;; [unrolled: 5-line block ×3, first 2 shown]
	v_lshrrev_b32_e32 v6, 16, v74
	ds_read_b32 v5, v37
	v_mul_f16_sdwa v122, v6, v7 dst_sel:DWORD dst_unused:UNUSED_PAD src0_sel:DWORD src1_sel:WORD_1
	v_fma_f16 v122, v74, v7, v122
	v_mul_f16_sdwa v74, v74, v7 dst_sel:DWORD dst_unused:UNUSED_PAD src0_sel:DWORD src1_sel:WORD_1
	v_fma_f16 v6, v6, v7, -v74
	v_sub_f16_e32 v7, v117, v109
	v_sub_f16_e32 v74, v1, v2
	v_add_f16_e32 v7, v7, v74
	v_sub_f16_e32 v74, v118, v119
	v_sub_f16_e32 v123, v120, v121
	v_add_f16_e32 v123, v74, v123
	v_mov_b32_e32 v74, 2
	v_lshlrev_b32_sdwa v107, v74, v107 dst_sel:DWORD dst_unused:UNUSED_PAD src0_sel:DWORD src1_sel:BYTE_0
	s_waitcnt lgkmcnt(0)
	v_lshrrev_b32_e32 v124, 16, v5
	v_add3_u32 v106, 0, v106, v107
	v_add_f16_e32 v107, v5, v117
	v_add_f16_e32 v125, v124, v118
	;; [unrolled: 1-line block ×8, first 2 shown]
	v_pack_b32_f16 v107, v107, v125
	v_add_f16_e32 v125, v109, v2
	v_add_f16_e32 v129, v119, v121
	v_fma_f16 v125, v125, -0.5, v5
	v_sub_f16_e32 v126, v118, v120
	v_fma_f16 v129, v129, -0.5, v124
	v_sub_f16_e32 v130, v117, v1
	v_fma_f16 v127, v126, s5, v125
	v_sub_f16_e32 v128, v119, v121
	v_fma_f16 v131, v130, s7, v129
	;; [unrolled: 2-line block ×3, first 2 shown]
	v_fma_f16 v131, v132, s8, v131
	v_fma_f16 v127, v7, s6, v127
	;; [unrolled: 1-line block ×3, first 2 shown]
	v_pack_b32_f16 v127, v127, v131
	s_barrier
	ds_write2_b32 v106, v107, v127 offset1:3
	v_add_f16_e32 v107, v117, v1
	v_fma_f16 v5, v107, -0.5, v5
	v_sub_f16_e32 v107, v109, v117
	v_sub_f16_e32 v1, v2, v1
	v_fma_f16 v2, v128, s7, v5
	v_fma_f16 v5, v128, s5, v5
	v_add_f16_e32 v1, v107, v1
	v_fma_f16 v2, v126, s4, v2
	v_fma_f16 v5, v126, s8, v5
	;; [unrolled: 1-line block ×4, first 2 shown]
	v_add_f16_e32 v5, v118, v120
	v_fma_f16 v5, v5, -0.5, v124
	v_sub_f16_e32 v107, v119, v118
	v_sub_f16_e32 v109, v121, v120
	v_add_f16_e32 v107, v107, v109
	v_fma_f16 v109, v132, s5, v5
	v_fma_f16 v5, v132, s7, v5
	;; [unrolled: 1-line block ×6, first 2 shown]
	v_pack_b32_f16 v2, v2, v109
	v_pack_b32_f16 v1, v1, v5
	ds_write2_b32 v106, v2, v1 offset0:6 offset1:9
	v_fma_f16 v1, v126, s7, v125
	v_fma_f16 v2, v130, s5, v129
	;; [unrolled: 1-line block ×6, first 2 shown]
	v_pack_b32_f16 v1, v1, v2
	ds_write_b32 v106, v1 offset:48
	v_sub_f16_e32 v1, v100, v103
	v_sub_f16_e32 v2, v105, v104
	v_add_f16_e32 v1, v1, v2
	v_sub_f16_e32 v2, v98, v99
	v_sub_f16_e32 v5, v102, v101
	v_add_f16_e32 v2, v2, v5
	v_lshlrev_b32_sdwa v5, v74, v33 dst_sel:DWORD dst_unused:UNUSED_PAD src0_sel:DWORD src1_sel:BYTE_0
	v_mul_u32_u24_e32 v7, 60, v15
	v_lshrrev_b32_e32 v15, 16, v112
	v_add3_u32 v5, 0, v7, v5
	v_add_f16_e32 v7, v112, v100
	v_add_f16_e32 v33, v15, v98
	;; [unrolled: 1-line block ×8, first 2 shown]
	v_pack_b32_f16 v7, v7, v33
	v_add_f16_e32 v33, v103, v104
	v_add_f16_e32 v117, v99, v101
	v_fma_f16 v33, v33, -0.5, v112
	v_sub_f16_e32 v106, v98, v102
	v_fma_f16 v117, v117, -0.5, v15
	v_sub_f16_e32 v118, v100, v105
	v_fma_f16 v107, v106, s5, v33
	v_sub_f16_e32 v109, v99, v101
	v_fma_f16 v119, v118, s7, v117
	v_sub_f16_e32 v120, v103, v104
	v_fma_f16 v107, v109, s4, v107
	v_fma_f16 v119, v120, s8, v119
	v_fma_f16 v107, v1, s6, v107
	;; [unrolled: 1-line block ×3, first 2 shown]
	v_pack_b32_f16 v107, v107, v119
	ds_write2_b32 v5, v7, v107 offset1:3
	v_add_f16_e32 v7, v100, v105
	v_fma_f16 v7, v7, -0.5, v112
	v_sub_f16_e32 v100, v103, v100
	v_sub_f16_e32 v103, v104, v105
	v_add_f16_e32 v100, v100, v103
	v_fma_f16 v103, v109, s7, v7
	v_fma_f16 v7, v109, s5, v7
	;; [unrolled: 1-line block ×6, first 2 shown]
	v_add_f16_e32 v100, v98, v102
	v_fma_f16 v15, v100, -0.5, v15
	v_sub_f16_e32 v98, v99, v98
	v_sub_f16_e32 v99, v101, v102
	v_add_f16_e32 v98, v98, v99
	v_fma_f16 v99, v120, s5, v15
	v_fma_f16 v15, v120, s7, v15
	;; [unrolled: 1-line block ×6, first 2 shown]
	v_pack_b32_f16 v98, v103, v99
	v_pack_b32_f16 v7, v7, v15
	ds_write2_b32 v5, v98, v7 offset0:6 offset1:9
	v_fma_f16 v7, v106, s7, v33
	v_fma_f16 v7, v109, s8, v7
	;; [unrolled: 1-line block ×6, first 2 shown]
	v_pack_b32_f16 v1, v1, v2
	ds_write_b32 v5, v1 offset:48
	v_sub_f16_e32 v1, v92, v94
	v_sub_f16_e32 v2, v97, v95
	v_add_f16_e32 v1, v1, v2
	v_sub_f16_e32 v2, v90, v91
	v_sub_f16_e32 v5, v96, v93
	v_add_f16_e32 v2, v2, v5
	v_lshlrev_b32_e32 v5, 2, v14
	v_mul_u32_u24_e32 v7, 60, v13
	v_lshrrev_b32_e32 v13, 16, v113
	v_add3_u32 v5, 0, v7, v5
	v_add_f16_e32 v7, v113, v92
	v_add_f16_e32 v14, v13, v90
	;; [unrolled: 1-line block ×8, first 2 shown]
	v_pack_b32_f16 v7, v7, v14
	v_add_f16_e32 v14, v94, v95
	v_add_f16_e32 v99, v91, v93
	v_fma_f16 v14, v14, -0.5, v113
	v_sub_f16_e32 v15, v90, v96
	v_fma_f16 v99, v99, -0.5, v13
	v_sub_f16_e32 v100, v92, v97
	v_fma_f16 v33, v15, s5, v14
	v_sub_f16_e32 v98, v91, v93
	v_fma_f16 v101, v100, s7, v99
	;; [unrolled: 2-line block ×3, first 2 shown]
	v_fma_f16 v101, v102, s8, v101
	v_fma_f16 v33, v1, s6, v33
	v_fma_f16 v101, v2, s6, v101
	v_pack_b32_f16 v33, v33, v101
	ds_write2_b32 v5, v7, v33 offset1:3
	v_add_f16_e32 v7, v92, v97
	v_fma_f16 v7, v7, -0.5, v113
	v_sub_f16_e32 v33, v94, v92
	v_sub_f16_e32 v92, v95, v97
	v_add_f16_e32 v33, v33, v92
	v_fma_f16 v92, v98, s7, v7
	v_fma_f16 v7, v98, s5, v7
	;; [unrolled: 1-line block ×6, first 2 shown]
	v_add_f16_e32 v33, v90, v96
	v_fma_f16 v13, v33, -0.5, v13
	v_sub_f16_e32 v33, v91, v90
	v_sub_f16_e32 v90, v93, v96
	v_add_f16_e32 v33, v33, v90
	v_fma_f16 v90, v102, s5, v13
	v_fma_f16 v13, v102, s7, v13
	;; [unrolled: 1-line block ×6, first 2 shown]
	v_pack_b32_f16 v33, v92, v90
	v_pack_b32_f16 v7, v7, v13
	ds_write2_b32 v5, v33, v7 offset0:6 offset1:9
	v_fma_f16 v7, v15, s7, v14
	v_fma_f16 v7, v98, s8, v7
	;; [unrolled: 1-line block ×6, first 2 shown]
	v_pack_b32_f16 v1, v1, v2
	ds_write_b32 v5, v1 offset:48
	v_sub_f16_e32 v1, v84, v87
	v_sub_f16_e32 v2, v89, v88
	v_add_f16_e32 v1, v1, v2
	v_sub_f16_e32 v2, v82, v83
	v_sub_f16_e32 v5, v86, v85
	v_add_f16_e32 v2, v2, v5
	v_lshlrev_b32_e32 v5, 2, v10
	v_mul_u32_u24_e32 v7, 60, v9
	v_lshrrev_b32_e32 v9, 16, v114
	v_add3_u32 v5, 0, v7, v5
	v_add_f16_e32 v7, v114, v84
	v_add_f16_e32 v10, v9, v82
	;; [unrolled: 1-line block ×8, first 2 shown]
	v_pack_b32_f16 v7, v7, v10
	v_add_f16_e32 v10, v87, v88
	v_add_f16_e32 v33, v83, v85
	v_fma_f16 v10, v10, -0.5, v114
	v_sub_f16_e32 v13, v82, v86
	v_fma_f16 v33, v33, -0.5, v9
	v_sub_f16_e32 v90, v84, v89
	v_fma_f16 v14, v13, s5, v10
	v_sub_f16_e32 v15, v83, v85
	v_fma_f16 v91, v90, s7, v33
	;; [unrolled: 2-line block ×3, first 2 shown]
	v_fma_f16 v91, v92, s8, v91
	v_fma_f16 v14, v1, s6, v14
	;; [unrolled: 1-line block ×3, first 2 shown]
	v_pack_b32_f16 v14, v14, v91
	ds_write2_b32 v5, v7, v14 offset1:3
	v_add_f16_e32 v7, v84, v89
	v_fma_f16 v7, v7, -0.5, v114
	v_sub_f16_e32 v14, v87, v84
	v_sub_f16_e32 v84, v88, v89
	v_add_f16_e32 v14, v14, v84
	v_fma_f16 v84, v15, s7, v7
	v_fma_f16 v7, v15, s5, v7
	;; [unrolled: 1-line block ×6, first 2 shown]
	v_add_f16_e32 v14, v82, v86
	v_fma_f16 v9, v14, -0.5, v9
	v_sub_f16_e32 v14, v83, v82
	v_sub_f16_e32 v82, v85, v86
	v_add_f16_e32 v14, v14, v82
	v_fma_f16 v82, v92, s5, v9
	v_fma_f16 v9, v92, s7, v9
	;; [unrolled: 1-line block ×6, first 2 shown]
	v_pack_b32_f16 v14, v84, v82
	v_pack_b32_f16 v7, v7, v9
	ds_write2_b32 v5, v14, v7 offset0:6 offset1:9
	v_fma_f16 v7, v13, s7, v10
	v_fma_f16 v7, v15, s8, v7
	;; [unrolled: 1-line block ×6, first 2 shown]
	v_pack_b32_f16 v1, v1, v2
	ds_write_b32 v5, v1 offset:48
	v_sub_f16_e32 v1, v76, v78
	v_sub_f16_e32 v2, v81, v80
	v_add_f16_e32 v1, v1, v2
	v_sub_f16_e32 v2, v36, v75
	v_sub_f16_e32 v5, v79, v77
	v_add_f16_e32 v2, v2, v5
	v_lshlrev_b32_e32 v5, 2, v12
	v_mul_u32_u24_e32 v7, 60, v11
	v_lshrrev_b32_e32 v9, 16, v115
	v_add3_u32 v5, 0, v7, v5
	v_add_f16_e32 v7, v115, v76
	v_add_f16_e32 v10, v9, v36
	;; [unrolled: 1-line block ×8, first 2 shown]
	v_pack_b32_f16 v7, v7, v10
	v_add_f16_e32 v10, v78, v80
	v_add_f16_e32 v14, v75, v77
	v_fma_f16 v10, v10, -0.5, v115
	v_sub_f16_e32 v11, v36, v79
	v_fma_f16 v14, v14, -0.5, v9
	v_sub_f16_e32 v15, v76, v81
	v_fma_f16 v12, v11, s5, v10
	v_sub_f16_e32 v13, v75, v77
	v_fma_f16 v33, v15, s7, v14
	;; [unrolled: 2-line block ×3, first 2 shown]
	v_fma_f16 v33, v82, s8, v33
	v_fma_f16 v12, v1, s6, v12
	;; [unrolled: 1-line block ×3, first 2 shown]
	v_pack_b32_f16 v12, v12, v33
	ds_write2_b32 v5, v7, v12 offset1:3
	v_add_f16_e32 v7, v76, v81
	v_fma_f16 v7, v7, -0.5, v115
	v_sub_f16_e32 v12, v78, v76
	v_sub_f16_e32 v33, v80, v81
	v_add_f16_e32 v12, v12, v33
	v_fma_f16 v33, v13, s7, v7
	v_fma_f16 v7, v13, s5, v7
	;; [unrolled: 1-line block ×6, first 2 shown]
	v_add_f16_e32 v12, v36, v79
	v_fma_f16 v9, v12, -0.5, v9
	v_sub_f16_e32 v12, v75, v36
	v_sub_f16_e32 v36, v77, v79
	v_add_f16_e32 v12, v12, v36
	v_fma_f16 v36, v82, s5, v9
	v_fma_f16 v9, v82, s7, v9
	;; [unrolled: 1-line block ×6, first 2 shown]
	v_pack_b32_f16 v12, v33, v36
	v_pack_b32_f16 v7, v7, v9
	ds_write2_b32 v5, v12, v7 offset0:6 offset1:9
	v_fma_f16 v7, v11, s7, v10
	v_fma_f16 v7, v13, s8, v7
	;; [unrolled: 1-line block ×6, first 2 shown]
	v_pack_b32_f16 v1, v1, v2
	ds_write_b32 v5, v1 offset:48
	v_sub_f16_e32 v1, v111, v108
	v_sub_f16_e32 v2, v122, v110
	v_add_f16_e32 v1, v1, v2
	v_sub_f16_e32 v2, v3, v4
	v_sub_f16_e32 v5, v6, v0
	v_add_f16_e32 v2, v2, v5
	v_lshlrev_b32_e32 v5, 2, v35
	v_mul_u32_u24_e32 v7, 60, v34
	v_lshrrev_b32_e32 v9, 16, v116
	v_add3_u32 v5, 0, v7, v5
	v_add_f16_e32 v7, v116, v111
	v_add_f16_e32 v10, v9, v3
	;; [unrolled: 1-line block ×8, first 2 shown]
	v_pack_b32_f16 v7, v7, v10
	v_add_f16_e32 v10, v108, v110
	v_add_f16_e32 v14, v4, v0
	v_fma_f16 v10, v10, -0.5, v116
	v_sub_f16_e32 v11, v3, v6
	v_fma_f16 v14, v14, -0.5, v9
	v_sub_f16_e32 v15, v111, v122
	v_fma_f16 v12, v11, s5, v10
	v_sub_f16_e32 v13, v4, v0
	v_fma_f16 v33, v15, s7, v14
	;; [unrolled: 2-line block ×3, first 2 shown]
	v_fma_f16 v33, v34, s8, v33
	v_fma_f16 v12, v1, s6, v12
	;; [unrolled: 1-line block ×3, first 2 shown]
	v_pack_b32_f16 v12, v12, v33
	ds_write2_b32 v5, v7, v12 offset1:3
	v_add_f16_e32 v7, v111, v122
	v_fma_f16 v7, v7, -0.5, v116
	v_sub_f16_e32 v12, v108, v111
	v_sub_f16_e32 v33, v110, v122
	v_add_f16_e32 v12, v12, v33
	v_fma_f16 v33, v13, s7, v7
	v_fma_f16 v7, v13, s5, v7
	;; [unrolled: 1-line block ×6, first 2 shown]
	v_add_f16_e32 v12, v3, v6
	v_fma_f16 v9, v12, -0.5, v9
	v_sub_f16_e32 v3, v4, v3
	v_sub_f16_e32 v0, v0, v6
	v_add_f16_e32 v0, v3, v0
	v_fma_f16 v3, v34, s5, v9
	v_fma_f16 v4, v34, s7, v9
	;; [unrolled: 1-line block ×6, first 2 shown]
	v_pack_b32_f16 v3, v33, v3
	v_pack_b32_f16 v0, v7, v0
	ds_write2_b32 v5, v3, v0 offset0:6 offset1:9
	v_fma_f16 v0, v11, s7, v10
	v_fma_f16 v0, v13, s8, v0
	;; [unrolled: 1-line block ×6, first 2 shown]
	v_pack_b32_f16 v0, v0, v1
	ds_write_b32 v5, v0 offset:48
	v_mul_lo_u16_sdwa v0, v20, s14 dst_sel:DWORD dst_unused:UNUSED_PAD src0_sel:BYTE_0 src1_sel:DWORD
	v_lshrrev_b16_e32 v11, 11, v0
	v_mul_lo_u16_e32 v0, 15, v11
	v_sub_u16_e32 v12, v20, v0
	v_lshlrev_b32_sdwa v0, v8, v12 dst_sel:DWORD dst_unused:UNUSED_PAD src0_sel:DWORD src1_sel:BYTE_0
	s_waitcnt lgkmcnt(0)
	s_barrier
	global_load_dwordx4 v[33:36], v0, s[12:13] offset:48
	v_mul_u32_u24_sdwa v0, v31, s9 dst_sel:DWORD dst_unused:UNUSED_PAD src0_sel:WORD_0 src1_sel:DWORD
	v_lshrrev_b32_e32 v9, 19, v0
	v_mul_lo_u16_e32 v0, 15, v9
	v_sub_u16_e32 v10, v31, v0
	v_lshlrev_b32_e32 v0, 4, v10
	global_load_dwordx4 v[76:79], v0, s[12:13] offset:48
	v_mul_u32_u24_sdwa v0, v30, s9 dst_sel:DWORD dst_unused:UNUSED_PAD src0_sel:WORD_0 src1_sel:DWORD
	v_lshrrev_b32_e32 v5, 19, v0
	v_mul_lo_u16_e32 v0, 15, v5
	v_sub_u16_e32 v6, v30, v0
	v_lshlrev_b32_e32 v0, 4, v6
	global_load_dwordx4 v[103:106], v0, s[12:13] offset:48
	v_mul_u32_u24_sdwa v0, v25, s9 dst_sel:DWORD dst_unused:UNUSED_PAD src0_sel:WORD_0 src1_sel:DWORD
	v_lshrrev_b32_e32 v4, 19, v0
	v_mul_lo_u16_e32 v0, 15, v4
	v_sub_u16_e32 v7, v25, v0
	ds_read2_b32 v[13:14], v51 offset0:107 offset1:232
	v_lshlrev_b32_e32 v0, 4, v7
	global_load_dwordx4 v[107:110], v0, s[12:13] offset:48
	v_mul_lo_u16_sdwa v0, v18, s14 dst_sel:DWORD dst_unused:UNUSED_PAD src0_sel:BYTE_0 src1_sel:DWORD
	ds_read2_b32 v[80:81], v52 offset0:89 offset1:214
	v_lshrrev_b16_e32 v101, 11, v0
	v_mul_lo_u16_e32 v0, 15, v101
	v_sub_u16_e32 v102, v18, v0
	s_waitcnt lgkmcnt(1)
	v_lshrrev_b32_e32 v15, 16, v13
	v_lshlrev_b32_sdwa v0, v8, v102 dst_sel:DWORD dst_unused:UNUSED_PAD src0_sel:DWORD src1_sel:BYTE_0
	ds_read2_b32 v[82:83], v54 offset0:71 offset1:196
	global_load_dwordx4 v[0:3], v0, s[12:13] offset:48
	ds_read2_b32 v[115:116], v58 offset0:65 offset1:190
	v_lshlrev_b32_sdwa v102, v74, v102 dst_sel:DWORD dst_unused:UNUSED_PAD src0_sel:DWORD src1_sel:BYTE_0
	v_mul_u32_u24_e32 v101, 0x12c, v101
	v_add3_u32 v101, 0, v101, v102
	v_lshlrev_b32_sdwa v12, v74, v12 dst_sel:DWORD dst_unused:UNUSED_PAD src0_sel:DWORD src1_sel:BYTE_0
	v_mul_u32_u24_e32 v11, 0x12c, v11
	v_add3_u32 v11, 0, v11, v12
	v_lshlrev_b32_e32 v10, 2, v10
	v_mul_u32_u24_e32 v9, 0x12c, v9
	v_add3_u32 v9, 0, v9, v10
	v_lshlrev_b32_e32 v6, 2, v6
	v_mul_u32_u24_e32 v5, 0x12c, v5
	v_add3_u32 v5, 0, v5, v6
	v_mul_u32_u24_e32 v4, 0x12c, v4
	s_movk_i32 s14, 0x4a
	s_waitcnt vmcnt(4)
	v_mul_f16_sdwa v8, v13, v33 dst_sel:DWORD dst_unused:UNUSED_PAD src0_sel:DWORD src1_sel:WORD_1
	v_fma_f16 v84, v15, v33, -v8
	v_mul_f16_sdwa v8, v15, v33 dst_sel:DWORD dst_unused:UNUSED_PAD src0_sel:DWORD src1_sel:WORD_1
	v_fma_f16 v91, v13, v33, v8
	s_waitcnt lgkmcnt(2)
	v_lshrrev_b32_e32 v8, 16, v80
	v_mul_f16_sdwa v13, v80, v34 dst_sel:DWORD dst_unused:UNUSED_PAD src0_sel:DWORD src1_sel:WORD_1
	v_fma_f16 v86, v8, v34, -v13
	v_mul_f16_sdwa v8, v8, v34 dst_sel:DWORD dst_unused:UNUSED_PAD src0_sel:DWORD src1_sel:WORD_1
	v_fma_f16 v94, v80, v34, v8
	ds_read2_b32 v[33:34], v55 offset0:53 offset1:178
	s_waitcnt lgkmcnt(2)
	v_lshrrev_b32_e32 v8, 16, v82
	v_mul_f16_sdwa v13, v82, v35 dst_sel:DWORD dst_unused:UNUSED_PAD src0_sel:DWORD src1_sel:WORD_1
	v_fma_f16 v89, v8, v35, -v13
	v_mul_f16_sdwa v8, v8, v35 dst_sel:DWORD dst_unused:UNUSED_PAD src0_sel:DWORD src1_sel:WORD_1
	v_fma_f16 v96, v82, v35, v8
	s_waitcnt lgkmcnt(0)
	v_lshrrev_b32_e32 v8, 16, v33
	v_mul_f16_sdwa v13, v33, v36 dst_sel:DWORD dst_unused:UNUSED_PAD src0_sel:DWORD src1_sel:WORD_1
	v_fma_f16 v93, v8, v36, -v13
	v_mul_f16_sdwa v8, v8, v36 dst_sel:DWORD dst_unused:UNUSED_PAD src0_sel:DWORD src1_sel:WORD_1
	v_fma_f16 v98, v33, v36, v8
	v_lshrrev_b32_e32 v8, 16, v14
	s_waitcnt vmcnt(3)
	v_mul_f16_sdwa v13, v8, v76 dst_sel:DWORD dst_unused:UNUSED_PAD src0_sel:DWORD src1_sel:WORD_1
	v_fma_f16 v75, v14, v76, v13
	v_mul_f16_sdwa v13, v14, v76 dst_sel:DWORD dst_unused:UNUSED_PAD src0_sel:DWORD src1_sel:WORD_1
	v_fma_f16 v15, v8, v76, -v13
	v_lshrrev_b32_e32 v8, 16, v81
	v_mul_f16_sdwa v13, v8, v77 dst_sel:DWORD dst_unused:UNUSED_PAD src0_sel:DWORD src1_sel:WORD_1
	v_fma_f16 v80, v81, v77, v13
	v_mul_f16_sdwa v13, v81, v77 dst_sel:DWORD dst_unused:UNUSED_PAD src0_sel:DWORD src1_sel:WORD_1
	v_fma_f16 v36, v8, v77, -v13
	v_lshrrev_b32_e32 v8, 16, v83
	v_mul_f16_sdwa v13, v8, v78 dst_sel:DWORD dst_unused:UNUSED_PAD src0_sel:DWORD src1_sel:WORD_1
	v_fma_f16 v81, v83, v78, v13
	v_mul_f16_sdwa v13, v83, v78 dst_sel:DWORD dst_unused:UNUSED_PAD src0_sel:DWORD src1_sel:WORD_1
	v_fma_f16 v76, v8, v78, -v13
	v_mul_u32_u24_sdwa v8, v27, s9 dst_sel:DWORD dst_unused:UNUSED_PAD src0_sel:WORD_0 src1_sel:DWORD
	v_lshrrev_b32_e32 v8, 19, v8
	v_mul_lo_u16_e32 v13, 15, v8
	v_sub_u16_e32 v13, v27, v13
	v_lshlrev_b32_e32 v33, 4, v13
	global_load_dwordx4 v[111:114], v33, s[12:13] offset:48
	v_lshrrev_b32_e32 v14, 16, v34
	ds_read2_b32 v[77:78], v53 offset0:101 offset1:226
	v_mul_f16_sdwa v33, v14, v79 dst_sel:DWORD dst_unused:UNUSED_PAD src0_sel:DWORD src1_sel:WORD_1
	v_fma_f16 v100, v34, v79, v33
	v_mul_f16_sdwa v33, v34, v79 dst_sel:DWORD dst_unused:UNUSED_PAD src0_sel:DWORD src1_sel:WORD_1
	ds_read2_b32 v[34:35], v56 offset0:83 offset1:208
	v_fma_f16 v99, v14, v79, -v33
	s_waitcnt lgkmcnt(1)
	v_lshrrev_b32_e32 v14, 16, v77
	s_waitcnt vmcnt(3)
	v_mul_f16_sdwa v33, v77, v103 dst_sel:DWORD dst_unused:UNUSED_PAD src0_sel:DWORD src1_sel:WORD_1
	v_fma_f16 v83, v14, v103, -v33
	v_mul_f16_sdwa v14, v14, v103 dst_sel:DWORD dst_unused:UNUSED_PAD src0_sel:DWORD src1_sel:WORD_1
	v_fma_f16 v88, v77, v103, v14
	s_waitcnt lgkmcnt(0)
	v_lshrrev_b32_e32 v14, 16, v34
	v_mul_f16_sdwa v33, v34, v104 dst_sel:DWORD dst_unused:UNUSED_PAD src0_sel:DWORD src1_sel:WORD_1
	v_fma_f16 v85, v14, v104, -v33
	v_mul_f16_sdwa v14, v14, v104 dst_sel:DWORD dst_unused:UNUSED_PAD src0_sel:DWORD src1_sel:WORD_1
	v_fma_f16 v92, v34, v104, v14
	ds_read2_b32 v[103:104], v59 offset0:47 offset1:172
	v_lshrrev_b32_e32 v14, 16, v115
	v_mul_f16_sdwa v33, v115, v105 dst_sel:DWORD dst_unused:UNUSED_PAD src0_sel:DWORD src1_sel:WORD_1
	v_fma_f16 v87, v14, v105, -v33
	v_mul_f16_sdwa v14, v14, v105 dst_sel:DWORD dst_unused:UNUSED_PAD src0_sel:DWORD src1_sel:WORD_1
	v_fma_f16 v95, v115, v105, v14
	s_waitcnt lgkmcnt(0)
	v_lshrrev_b32_e32 v14, 16, v103
	v_mul_f16_sdwa v33, v103, v106 dst_sel:DWORD dst_unused:UNUSED_PAD src0_sel:DWORD src1_sel:WORD_1
	v_fma_f16 v90, v14, v106, -v33
	v_mul_f16_sdwa v14, v14, v106 dst_sel:DWORD dst_unused:UNUSED_PAD src0_sel:DWORD src1_sel:WORD_1
	v_fma_f16 v97, v103, v106, v14
	v_lshrrev_b32_e32 v14, 16, v78
	s_waitcnt vmcnt(2)
	v_mul_f16_sdwa v33, v14, v107 dst_sel:DWORD dst_unused:UNUSED_PAD src0_sel:DWORD src1_sel:WORD_1
	v_fma_f16 v34, v78, v107, v33
	v_mul_f16_sdwa v33, v78, v107 dst_sel:DWORD dst_unused:UNUSED_PAD src0_sel:DWORD src1_sel:WORD_1
	v_fma_f16 v14, v14, v107, -v33
	v_lshrrev_b32_e32 v33, 16, v35
	v_mul_f16_sdwa v77, v33, v108 dst_sel:DWORD dst_unused:UNUSED_PAD src0_sel:DWORD src1_sel:WORD_1
	v_fma_f16 v77, v35, v108, v77
	v_mul_f16_sdwa v35, v35, v108 dst_sel:DWORD dst_unused:UNUSED_PAD src0_sel:DWORD src1_sel:WORD_1
	v_fma_f16 v33, v33, v108, -v35
	v_lshrrev_b32_e32 v35, 16, v116
	;; [unrolled: 5-line block ×3, first 2 shown]
	v_mul_f16_sdwa v82, v78, v110 dst_sel:DWORD dst_unused:UNUSED_PAD src0_sel:DWORD src1_sel:WORD_1
	v_mul_f16_sdwa v103, v104, v110 dst_sel:DWORD dst_unused:UNUSED_PAD src0_sel:DWORD src1_sel:WORD_1
	v_fma_f16 v82, v104, v110, v82
	v_fma_f16 v78, v78, v110, -v103
	ds_read_b32 v105, v57
	ds_read_b32 v107, v50
	;; [unrolled: 1-line block ×6, first 2 shown]
	ds_read_b32 v116, v37 offset:14500
	ds_read2_b32 v[103:104], v70 offset0:95 offset1:220
	s_waitcnt lgkmcnt(7)
	v_lshrrev_b32_e32 v106, 16, v105
	s_waitcnt vmcnt(1)
	v_mul_f16_sdwa v117, v0, v106 dst_sel:DWORD dst_unused:UNUSED_PAD src0_sel:WORD_1 src1_sel:DWORD
	v_fma_f16 v117, v0, v105, v117
	v_mul_f16_sdwa v105, v0, v105 dst_sel:DWORD dst_unused:UNUSED_PAD src0_sel:WORD_1 src1_sel:DWORD
	v_fma_f16 v118, v0, v106, -v105
	s_waitcnt lgkmcnt(0)
	v_lshrrev_b32_e32 v0, 16, v104
	ds_read2_b32 v[105:106], v69 offset0:77 offset1:202
	v_mul_f16_sdwa v119, v1, v104 dst_sel:DWORD dst_unused:UNUSED_PAD src0_sel:WORD_1 src1_sel:DWORD
	v_fma_f16 v119, v1, v0, -v119
	v_mul_f16_sdwa v0, v1, v0 dst_sel:DWORD dst_unused:UNUSED_PAD src0_sel:WORD_1 src1_sel:DWORD
	v_fma_f16 v104, v1, v104, v0
	ds_read2_b32 v[0:1], v68 offset0:59 offset1:184
	s_waitcnt lgkmcnt(1)
	v_lshrrev_b32_e32 v120, 16, v106
	v_mul_f16_sdwa v121, v2, v106 dst_sel:DWORD dst_unused:UNUSED_PAD src0_sel:WORD_1 src1_sel:DWORD
	v_fma_f16 v121, v2, v120, -v121
	v_mul_f16_sdwa v120, v2, v120 dst_sel:DWORD dst_unused:UNUSED_PAD src0_sel:WORD_1 src1_sel:DWORD
	v_fma_f16 v2, v2, v106, v120
	s_waitcnt lgkmcnt(0)
	v_lshrrev_b32_e32 v106, 16, v1
	v_mul_f16_sdwa v120, v1, v3 dst_sel:DWORD dst_unused:UNUSED_PAD src0_sel:DWORD src1_sel:WORD_1
	v_fma_f16 v120, v106, v3, -v120
	v_mul_f16_sdwa v106, v106, v3 dst_sel:DWORD dst_unused:UNUSED_PAD src0_sel:DWORD src1_sel:WORD_1
	v_fma_f16 v1, v1, v3, v106
	v_lshrrev_b32_e32 v3, 16, v103
	v_sub_f16_e32 v123, v120, v121
	v_add_f16_e32 v128, v119, v121
	v_sub_f16_e32 v125, v118, v120
	v_sub_f16_e32 v129, v117, v1
	;; [unrolled: 1-line block ×4, first 2 shown]
	s_waitcnt vmcnt(0)
	v_mul_f16_sdwa v106, v3, v111 dst_sel:DWORD dst_unused:UNUSED_PAD src0_sel:DWORD src1_sel:WORD_1
	v_fma_f16 v106, v103, v111, v106
	v_mul_f16_sdwa v103, v103, v111 dst_sel:DWORD dst_unused:UNUSED_PAD src0_sel:DWORD src1_sel:WORD_1
	v_fma_f16 v3, v3, v111, -v103
	v_lshrrev_b32_e32 v103, 16, v105
	v_mul_f16_sdwa v111, v103, v112 dst_sel:DWORD dst_unused:UNUSED_PAD src0_sel:DWORD src1_sel:WORD_1
	v_fma_f16 v111, v105, v112, v111
	v_mul_f16_sdwa v105, v105, v112 dst_sel:DWORD dst_unused:UNUSED_PAD src0_sel:DWORD src1_sel:WORD_1
	v_fma_f16 v103, v103, v112, -v105
	v_lshrrev_b32_e32 v105, 16, v0
	v_mul_f16_sdwa v112, v105, v113 dst_sel:DWORD dst_unused:UNUSED_PAD src0_sel:DWORD src1_sel:WORD_1
	v_fma_f16 v112, v0, v113, v112
	v_mul_f16_sdwa v0, v0, v113 dst_sel:DWORD dst_unused:UNUSED_PAD src0_sel:DWORD src1_sel:WORD_1
	v_fma_f16 v0, v105, v113, -v0
	ds_read_b32 v105, v37
	v_lshrrev_b32_e32 v113, 16, v116
	v_mul_f16_sdwa v122, v113, v114 dst_sel:DWORD dst_unused:UNUSED_PAD src0_sel:DWORD src1_sel:WORD_1
	v_fma_f16 v122, v116, v114, v122
	v_mul_f16_sdwa v116, v116, v114 dst_sel:DWORD dst_unused:UNUSED_PAD src0_sel:DWORD src1_sel:WORD_1
	v_fma_f16 v113, v113, v114, -v116
	v_sub_f16_e32 v114, v117, v104
	v_sub_f16_e32 v116, v1, v2
	v_add_f16_e32 v114, v114, v116
	v_sub_f16_e32 v116, v118, v119
	v_add_f16_e32 v116, v116, v123
	s_waitcnt lgkmcnt(0)
	v_lshrrev_b32_e32 v123, 16, v105
	v_add_f16_e32 v102, v105, v117
	v_add_f16_e32 v124, v123, v118
	;; [unrolled: 1-line block ×8, first 2 shown]
	v_pack_b32_f16 v102, v102, v124
	v_add_f16_e32 v124, v104, v2
	v_fma_f16 v124, v124, -0.5, v105
	v_fma_f16 v128, v128, -0.5, v123
	v_fma_f16 v126, v125, s5, v124
	v_fma_f16 v130, v129, s7, v128
	;; [unrolled: 1-line block ×6, first 2 shown]
	v_pack_b32_f16 v126, v126, v130
	s_barrier
	ds_write2_b32 v101, v102, v126 offset1:15
	v_add_f16_e32 v102, v117, v1
	v_fma_f16 v102, v102, -0.5, v105
	v_sub_f16_e32 v104, v104, v117
	v_sub_f16_e32 v1, v2, v1
	v_fma_f16 v2, v127, s7, v102
	v_fma_f16 v102, v127, s5, v102
	v_add_f16_e32 v1, v104, v1
	v_fma_f16 v2, v125, s4, v2
	v_fma_f16 v102, v125, s8, v102
	;; [unrolled: 1-line block ×4, first 2 shown]
	v_add_f16_e32 v102, v118, v120
	v_fma_f16 v102, v102, -0.5, v123
	v_sub_f16_e32 v104, v119, v118
	v_sub_f16_e32 v105, v121, v120
	v_add_f16_e32 v104, v104, v105
	v_fma_f16 v105, v131, s5, v102
	v_fma_f16 v102, v131, s7, v102
	;; [unrolled: 1-line block ×6, first 2 shown]
	v_pack_b32_f16 v2, v2, v105
	v_pack_b32_f16 v1, v1, v102
	ds_write2_b32 v101, v2, v1 offset0:30 offset1:45
	v_fma_f16 v1, v125, s7, v124
	v_fma_f16 v2, v129, s5, v128
	v_fma_f16 v1, v127, s8, v1
	v_fma_f16 v2, v131, s4, v2
	v_fma_f16 v1, v114, s6, v1
	v_fma_f16 v2, v116, s6, v2
	v_pack_b32_f16 v1, v1, v2
	ds_write_b32 v101, v1 offset:240
	v_sub_f16_e32 v1, v91, v94
	v_sub_f16_e32 v2, v98, v96
	v_add_f16_e32 v1, v1, v2
	v_sub_f16_e32 v2, v84, v86
	v_sub_f16_e32 v101, v93, v89
	v_add_f16_e32 v2, v2, v101
	v_lshrrev_b32_e32 v101, 16, v107
	v_add_f16_e32 v12, v107, v91
	v_add_f16_e32 v102, v101, v84
	;; [unrolled: 1-line block ×8, first 2 shown]
	v_pack_b32_f16 v12, v12, v102
	v_add_f16_e32 v102, v94, v96
	v_add_f16_e32 v116, v86, v89
	v_fma_f16 v102, v102, -0.5, v107
	v_sub_f16_e32 v104, v84, v93
	v_fma_f16 v116, v116, -0.5, v101
	v_sub_f16_e32 v117, v91, v98
	v_fma_f16 v105, v104, s5, v102
	v_sub_f16_e32 v114, v86, v89
	v_fma_f16 v118, v117, s7, v116
	;; [unrolled: 2-line block ×3, first 2 shown]
	v_fma_f16 v118, v119, s8, v118
	v_fma_f16 v105, v1, s6, v105
	;; [unrolled: 1-line block ×3, first 2 shown]
	v_pack_b32_f16 v105, v105, v118
	ds_write2_b32 v11, v12, v105 offset1:15
	v_add_f16_e32 v12, v91, v98
	v_fma_f16 v12, v12, -0.5, v107
	v_sub_f16_e32 v91, v94, v91
	v_sub_f16_e32 v94, v96, v98
	v_add_f16_e32 v91, v91, v94
	v_fma_f16 v94, v114, s7, v12
	v_fma_f16 v12, v114, s5, v12
	;; [unrolled: 1-line block ×6, first 2 shown]
	v_add_f16_e32 v91, v84, v93
	v_fma_f16 v91, v91, -0.5, v101
	v_sub_f16_e32 v84, v86, v84
	v_sub_f16_e32 v86, v89, v93
	v_add_f16_e32 v84, v84, v86
	v_fma_f16 v86, v119, s5, v91
	v_fma_f16 v89, v119, s7, v91
	v_fma_f16 v86, v117, s8, v86
	v_fma_f16 v89, v117, s4, v89
	v_fma_f16 v86, v84, s6, v86
	v_fma_f16 v84, v84, s6, v89
	v_pack_b32_f16 v86, v94, v86
	v_pack_b32_f16 v12, v12, v84
	ds_write2_b32 v11, v86, v12 offset0:30 offset1:45
	v_fma_f16 v12, v104, s7, v102
	v_fma_f16 v12, v114, s8, v12
	;; [unrolled: 1-line block ×6, first 2 shown]
	v_pack_b32_f16 v1, v1, v2
	ds_write_b32 v11, v1 offset:240
	v_sub_f16_e32 v1, v75, v80
	v_sub_f16_e32 v2, v100, v81
	v_add_f16_e32 v1, v1, v2
	v_sub_f16_e32 v2, v15, v36
	v_sub_f16_e32 v11, v99, v76
	v_add_f16_e32 v2, v2, v11
	v_lshrrev_b32_e32 v11, 16, v108
	v_add_f16_e32 v10, v108, v75
	v_add_f16_e32 v12, v11, v15
	;; [unrolled: 1-line block ×8, first 2 shown]
	v_pack_b32_f16 v10, v10, v12
	v_add_f16_e32 v12, v80, v81
	v_add_f16_e32 v91, v36, v76
	v_fma_f16 v12, v12, -0.5, v108
	v_sub_f16_e32 v84, v15, v99
	v_fma_f16 v91, v91, -0.5, v11
	v_sub_f16_e32 v93, v75, v100
	v_fma_f16 v86, v84, s5, v12
	v_sub_f16_e32 v89, v36, v76
	v_fma_f16 v94, v93, s7, v91
	;; [unrolled: 2-line block ×3, first 2 shown]
	v_fma_f16 v94, v96, s8, v94
	v_fma_f16 v86, v1, s6, v86
	;; [unrolled: 1-line block ×3, first 2 shown]
	v_pack_b32_f16 v86, v86, v94
	ds_write2_b32 v9, v10, v86 offset1:15
	v_add_f16_e32 v10, v75, v100
	v_fma_f16 v10, v10, -0.5, v108
	v_sub_f16_e32 v75, v80, v75
	v_sub_f16_e32 v80, v81, v100
	v_add_f16_e32 v75, v75, v80
	v_fma_f16 v80, v89, s7, v10
	v_fma_f16 v10, v89, s5, v10
	;; [unrolled: 1-line block ×6, first 2 shown]
	v_add_f16_e32 v75, v15, v99
	v_fma_f16 v11, v75, -0.5, v11
	v_sub_f16_e32 v15, v36, v15
	v_sub_f16_e32 v36, v76, v99
	v_add_f16_e32 v15, v15, v36
	v_fma_f16 v36, v96, s5, v11
	v_fma_f16 v11, v96, s7, v11
	;; [unrolled: 1-line block ×6, first 2 shown]
	v_pack_b32_f16 v15, v80, v36
	v_pack_b32_f16 v10, v10, v11
	ds_write2_b32 v9, v15, v10 offset0:30 offset1:45
	v_fma_f16 v10, v84, s7, v12
	v_fma_f16 v10, v89, s8, v10
	;; [unrolled: 1-line block ×6, first 2 shown]
	v_pack_b32_f16 v1, v1, v2
	ds_write_b32 v9, v1 offset:240
	v_sub_f16_e32 v1, v88, v92
	v_sub_f16_e32 v2, v97, v95
	v_add_f16_e32 v1, v1, v2
	v_sub_f16_e32 v2, v83, v85
	v_sub_f16_e32 v9, v90, v87
	v_add_f16_e32 v2, v2, v9
	v_lshrrev_b32_e32 v9, 16, v109
	v_add_f16_e32 v6, v109, v88
	v_add_f16_e32 v10, v9, v83
	;; [unrolled: 1-line block ×8, first 2 shown]
	v_pack_b32_f16 v6, v6, v10
	v_add_f16_e32 v10, v92, v95
	v_add_f16_e32 v36, v85, v87
	v_fma_f16 v10, v10, -0.5, v109
	v_sub_f16_e32 v11, v83, v90
	v_fma_f16 v36, v36, -0.5, v9
	v_sub_f16_e32 v75, v88, v97
	v_fma_f16 v12, v11, s5, v10
	v_sub_f16_e32 v15, v85, v87
	v_fma_f16 v76, v75, s7, v36
	;; [unrolled: 2-line block ×3, first 2 shown]
	v_fma_f16 v76, v80, s8, v76
	v_fma_f16 v12, v1, s6, v12
	;; [unrolled: 1-line block ×3, first 2 shown]
	v_pack_b32_f16 v12, v12, v76
	ds_write2_b32 v5, v6, v12 offset1:15
	v_add_f16_e32 v6, v88, v97
	v_fma_f16 v6, v6, -0.5, v109
	v_sub_f16_e32 v12, v92, v88
	v_sub_f16_e32 v76, v95, v97
	v_add_f16_e32 v12, v12, v76
	v_fma_f16 v76, v15, s7, v6
	v_fma_f16 v6, v15, s5, v6
	;; [unrolled: 1-line block ×6, first 2 shown]
	v_add_f16_e32 v12, v83, v90
	v_fma_f16 v9, v12, -0.5, v9
	v_sub_f16_e32 v12, v85, v83
	v_sub_f16_e32 v81, v87, v90
	v_add_f16_e32 v12, v12, v81
	v_fma_f16 v81, v80, s5, v9
	v_fma_f16 v9, v80, s7, v9
	;; [unrolled: 1-line block ×6, first 2 shown]
	v_pack_b32_f16 v12, v76, v81
	v_pack_b32_f16 v6, v6, v9
	ds_write2_b32 v5, v12, v6 offset0:30 offset1:45
	v_fma_f16 v6, v11, s7, v10
	v_fma_f16 v6, v15, s8, v6
	;; [unrolled: 1-line block ×6, first 2 shown]
	v_pack_b32_f16 v1, v1, v2
	ds_write_b32 v5, v1 offset:240
	v_sub_f16_e32 v1, v34, v77
	v_sub_f16_e32 v2, v82, v79
	v_add_f16_e32 v1, v1, v2
	v_sub_f16_e32 v2, v14, v33
	v_sub_f16_e32 v5, v78, v35
	v_add_f16_e32 v2, v2, v5
	v_lshlrev_b32_e32 v5, 2, v7
	v_lshrrev_b32_e32 v6, 16, v110
	v_add3_u32 v4, 0, v4, v5
	v_add_f16_e32 v5, v110, v34
	v_add_f16_e32 v7, v6, v14
	;; [unrolled: 1-line block ×8, first 2 shown]
	v_pack_b32_f16 v5, v5, v7
	v_add_f16_e32 v7, v77, v79
	v_add_f16_e32 v12, v33, v35
	v_fma_f16 v7, v7, -0.5, v110
	v_sub_f16_e32 v9, v14, v78
	v_fma_f16 v12, v12, -0.5, v6
	v_sub_f16_e32 v15, v34, v82
	v_fma_f16 v10, v9, s5, v7
	v_sub_f16_e32 v11, v33, v35
	v_fma_f16 v36, v15, s7, v12
	;; [unrolled: 2-line block ×3, first 2 shown]
	v_fma_f16 v36, v75, s8, v36
	v_fma_f16 v10, v1, s6, v10
	;; [unrolled: 1-line block ×3, first 2 shown]
	v_pack_b32_f16 v10, v10, v36
	ds_write2_b32 v4, v5, v10 offset1:15
	v_add_f16_e32 v5, v34, v82
	v_fma_f16 v5, v5, -0.5, v110
	v_sub_f16_e32 v10, v77, v34
	v_sub_f16_e32 v34, v79, v82
	v_add_f16_e32 v10, v10, v34
	v_fma_f16 v34, v11, s7, v5
	v_fma_f16 v5, v11, s5, v5
	;; [unrolled: 1-line block ×6, first 2 shown]
	v_add_f16_e32 v10, v14, v78
	v_fma_f16 v6, v10, -0.5, v6
	v_sub_f16_e32 v10, v33, v14
	v_sub_f16_e32 v14, v35, v78
	v_add_f16_e32 v10, v10, v14
	v_fma_f16 v14, v75, s5, v6
	v_fma_f16 v6, v75, s7, v6
	;; [unrolled: 1-line block ×6, first 2 shown]
	v_pack_b32_f16 v10, v34, v14
	v_pack_b32_f16 v5, v5, v6
	ds_write2_b32 v4, v10, v5 offset0:30 offset1:45
	v_fma_f16 v5, v9, s7, v7
	v_fma_f16 v5, v11, s8, v5
	;; [unrolled: 1-line block ×6, first 2 shown]
	v_pack_b32_f16 v1, v1, v2
	ds_write_b32 v4, v1 offset:240
	v_sub_f16_e32 v1, v106, v111
	v_sub_f16_e32 v2, v122, v112
	v_add_f16_e32 v1, v1, v2
	v_sub_f16_e32 v2, v3, v103
	v_sub_f16_e32 v4, v113, v0
	v_add_f16_e32 v2, v2, v4
	v_lshlrev_b32_e32 v4, 2, v13
	v_mul_u32_u24_e32 v5, 0x12c, v8
	v_lshrrev_b32_e32 v6, 16, v115
	v_add3_u32 v4, 0, v5, v4
	v_add_f16_e32 v5, v115, v106
	v_add_f16_e32 v7, v6, v3
	;; [unrolled: 1-line block ×8, first 2 shown]
	v_pack_b32_f16 v5, v5, v7
	v_add_f16_e32 v7, v111, v112
	v_add_f16_e32 v11, v103, v0
	v_fma_f16 v7, v7, -0.5, v115
	v_sub_f16_e32 v8, v3, v113
	v_fma_f16 v11, v11, -0.5, v6
	v_sub_f16_e32 v12, v106, v122
	v_fma_f16 v9, v8, s5, v7
	v_sub_f16_e32 v10, v103, v0
	v_fma_f16 v13, v12, s7, v11
	;; [unrolled: 2-line block ×3, first 2 shown]
	v_fma_f16 v13, v14, s8, v13
	v_fma_f16 v9, v1, s6, v9
	;; [unrolled: 1-line block ×3, first 2 shown]
	v_pack_b32_f16 v9, v9, v13
	ds_write2_b32 v4, v5, v9 offset1:15
	v_add_f16_e32 v5, v106, v122
	v_fma_f16 v5, v5, -0.5, v115
	v_sub_f16_e32 v9, v111, v106
	v_sub_f16_e32 v13, v112, v122
	v_add_f16_e32 v9, v9, v13
	v_fma_f16 v13, v10, s7, v5
	v_fma_f16 v5, v10, s5, v5
	;; [unrolled: 1-line block ×6, first 2 shown]
	v_add_f16_e32 v9, v3, v113
	v_fma_f16 v6, v9, -0.5, v6
	v_sub_f16_e32 v3, v103, v3
	v_sub_f16_e32 v0, v0, v113
	v_add_f16_e32 v0, v3, v0
	v_fma_f16 v3, v14, s5, v6
	v_fma_f16 v6, v14, s7, v6
	v_fma_f16 v3, v12, s8, v3
	v_fma_f16 v6, v12, s4, v6
	v_fma_f16 v3, v0, s6, v3
	v_fma_f16 v0, v0, s6, v6
	v_pack_b32_f16 v3, v13, v3
	v_pack_b32_f16 v0, v5, v0
	ds_write2_b32 v4, v3, v0 offset0:30 offset1:45
	v_fma_f16 v0, v8, s7, v7
	v_fma_f16 v0, v10, s8, v0
	;; [unrolled: 1-line block ×6, first 2 shown]
	v_pack_b32_f16 v0, v0, v1
	s_movk_i32 s9, 0x4b
	ds_write_b32 v4, v0 offset:240
	v_add_u32_e32 v0, 0xffffffb5, v18
	v_cmp_gt_u32_e32 vcc, s9, v18
	v_cndmask_b32_e32 v80, v0, v18, vcc
	v_mul_i32_i24_e32 v33, 9, v80
	v_mov_b32_e32 v34, 0
	v_lshlrev_b64 v[0:1], 2, v[33:34]
	v_mov_b32_e32 v76, s13
	v_add_co_u32_e32 v35, vcc, s12, v0
	v_addc_co_u32_e32 v36, vcc, v76, v1, vcc
	s_waitcnt lgkmcnt(0)
	s_barrier
	global_load_dwordx4 v[0:3], v[35:36], off offset:288
	s_movk_i32 s9, 0xdb
	v_mul_lo_u16_sdwa v4, v20, s9 dst_sel:DWORD dst_unused:UNUSED_PAD src0_sel:BYTE_0 src1_sel:DWORD
	v_lshrrev_b16_e32 v78, 14, v4
	v_mul_lo_u16_e32 v4, 0x4b, v78
	v_sub_u16_e32 v79, v20, v4
	v_mov_b32_e32 v4, 9
	v_mul_u32_u24_sdwa v4, v79, v4 dst_sel:DWORD dst_unused:UNUSED_PAD src0_sel:BYTE_0 src1_sel:DWORD
	v_lshlrev_b32_e32 v82, 2, v4
	global_load_dwordx4 v[4:7], v82, s[12:13] offset:288
	s_mov_b32 s9, 0xb4e9
	v_mul_u32_u24_sdwa v8, v31, s9 dst_sel:DWORD dst_unused:UNUSED_PAD src0_sel:WORD_0 src1_sel:DWORD
	v_sub_u16_sdwa v9, v31, v8 dst_sel:DWORD dst_unused:UNUSED_PAD src0_sel:DWORD src1_sel:WORD_1
	v_lshrrev_b16_e32 v9, 1, v9
	v_add_u16_sdwa v8, v9, v8 dst_sel:DWORD dst_unused:UNUSED_PAD src0_sel:DWORD src1_sel:WORD_1
	v_lshrrev_b16_e32 v33, 6, v8
	v_mul_lo_u16_e32 v8, 0x4b, v33
	v_sub_u16_e32 v77, v31, v8
	v_mul_u32_u24_e32 v8, 9, v77
	v_lshlrev_b32_e32 v81, 2, v8
	global_load_dwordx4 v[12:15], v81, s[12:13] offset:288
	global_load_dwordx4 v[8:11], v[35:36], off offset:304
	ds_read_b32 v75, v48
	ds_read_b32 v83, v49
	s_mov_b32 s9, 0xba79
	v_cmp_lt_u32_e32 vcc, s14, v18
	s_movk_i32 s14, 0x3a79
	s_waitcnt lgkmcnt(1)
	v_lshrrev_b32_e32 v84, 16, v75
	v_lshlrev_b32_sdwa v74, v74, v79 dst_sel:DWORD dst_unused:UNUSED_PAD src0_sel:DWORD src1_sel:BYTE_0
	v_mul_u32_u24_e32 v78, 0xbb8, v78
	v_add3_u32 v74, 0, v78, v74
	v_mul_u32_u24_e32 v33, 0xbb8, v33
	s_waitcnt vmcnt(3)
	v_mul_f16_sdwa v85, v0, v84 dst_sel:DWORD dst_unused:UNUSED_PAD src0_sel:WORD_1 src1_sel:DWORD
	v_fma_f16 v92, v0, v75, v85
	ds_read_b32 v85, v57
	v_mul_f16_sdwa v75, v0, v75 dst_sel:DWORD dst_unused:UNUSED_PAD src0_sel:WORD_1 src1_sel:DWORD
	v_fma_f16 v93, v0, v84, -v75
	v_lshl_add_u32 v75, v24, 2, 0
	ds_read_b32 v94, v50
	ds_read_u16 v88, v75 offset:2
	s_waitcnt lgkmcnt(2)
	v_lshrrev_b32_e32 v0, 16, v85
	v_mul_f16_sdwa v84, v1, v0 dst_sel:DWORD dst_unused:UNUSED_PAD src0_sel:WORD_1 src1_sel:DWORD
	v_fma_f16 v95, v1, v85, v84
	v_mul_f16_sdwa v84, v1, v85 dst_sel:DWORD dst_unused:UNUSED_PAD src0_sel:WORD_1 src1_sel:DWORD
	v_fma_f16 v96, v1, v0, -v84
	ds_read_b32 v89, v75
	ds_read2_b32 v[0:1], v73 offset0:92 offset1:217
	global_load_dwordx4 v[84:87], v82, s[12:13] offset:304
	s_waitcnt lgkmcnt(2)
	v_mul_f16_sdwa v73, v88, v2 dst_sel:DWORD dst_unused:UNUSED_PAD src0_sel:DWORD src1_sel:WORD_1
	ds_read_b32 v97, v37
	s_waitcnt lgkmcnt(2)
	v_fma_f16 v73, v2, v89, v73
	v_mul_f16_sdwa v89, v2, v89 dst_sel:DWORD dst_unused:UNUSED_PAD src0_sel:WORD_1 src1_sel:DWORD
	v_fma_f16 v98, v88, v2, -v89
	s_waitcnt lgkmcnt(1)
	v_lshrrev_b32_e32 v2, 16, v0
	v_mul_f16_sdwa v88, v0, v3 dst_sel:DWORD dst_unused:UNUSED_PAD src0_sel:DWORD src1_sel:WORD_1
	v_fma_f16 v99, v2, v3, -v88
	global_load_dwordx4 v[88:91], v81, s[12:13] offset:304
	v_mul_f16_sdwa v2, v2, v3 dst_sel:DWORD dst_unused:UNUSED_PAD src0_sel:DWORD src1_sel:WORD_1
	v_fma_f16 v100, v0, v3, v2
	ds_read2_b32 v[2:3], v67 offset0:116 offset1:241
	global_load_dword v67, v[35:36], off offset:320
	v_lshrrev_b32_e32 v0, 16, v1
	global_load_dword v82, v82, s[12:13] offset:320
	s_waitcnt vmcnt(6)
	v_mul_f16_sdwa v35, v0, v7 dst_sel:DWORD dst_unused:UNUSED_PAD src0_sel:DWORD src1_sel:WORD_1
	global_load_dword v81, v81, s[12:13] offset:320
	v_fma_f16 v101, v1, v7, v35
	v_mul_f16_sdwa v1, v1, v7 dst_sel:DWORD dst_unused:UNUSED_PAD src0_sel:DWORD src1_sel:WORD_1
	v_fma_f16 v102, v0, v7, -v1
	s_waitcnt lgkmcnt(0)
	v_lshrrev_b32_e32 v0, 16, v2
	v_mul_f16_sdwa v1, v2, v4 dst_sel:DWORD dst_unused:UNUSED_PAD src0_sel:DWORD src1_sel:WORD_1
	ds_read2_b32 v[35:36], v51 offset0:107 offset1:232
	v_fma_f16 v103, v0, v4, -v1
	v_mul_f16_sdwa v0, v0, v4 dst_sel:DWORD dst_unused:UNUSED_PAD src0_sel:DWORD src1_sel:WORD_1
	v_fma_f16 v104, v2, v4, v0
	ds_read2_b32 v[1:2], v72 offset0:98 offset1:223
	s_waitcnt lgkmcnt(1)
	v_lshrrev_b32_e32 v0, 16, v35
	v_mul_f16_sdwa v4, v35, v5 dst_sel:DWORD dst_unused:UNUSED_PAD src0_sel:DWORD src1_sel:WORD_1
	v_fma_f16 v72, v0, v5, -v4
	v_mul_f16_sdwa v0, v0, v5 dst_sel:DWORD dst_unused:UNUSED_PAD src0_sel:DWORD src1_sel:WORD_1
	v_fma_f16 v35, v35, v5, v0
	s_waitcnt lgkmcnt(0)
	v_lshrrev_b32_e32 v0, 16, v1
	v_mul_f16_sdwa v4, v1, v6 dst_sel:DWORD dst_unused:UNUSED_PAD src0_sel:DWORD src1_sel:WORD_1
	v_fma_f16 v105, v0, v6, -v4
	v_mul_f16_sdwa v0, v0, v6 dst_sel:DWORD dst_unused:UNUSED_PAD src0_sel:DWORD src1_sel:WORD_1
	v_fma_f16 v106, v1, v6, v0
	v_lshrrev_b32_e32 v0, 16, v3
	s_waitcnt vmcnt(6)
	v_mul_f16_sdwa v1, v0, v12 dst_sel:DWORD dst_unused:UNUSED_PAD src0_sel:DWORD src1_sel:WORD_1
	v_fma_f16 v1, v3, v12, v1
	v_mul_f16_sdwa v3, v3, v12 dst_sel:DWORD dst_unused:UNUSED_PAD src0_sel:DWORD src1_sel:WORD_1
	v_fma_f16 v0, v0, v12, -v3
	v_lshrrev_b32_e32 v3, 16, v36
	v_mul_f16_sdwa v4, v3, v13 dst_sel:DWORD dst_unused:UNUSED_PAD src0_sel:DWORD src1_sel:WORD_1
	v_fma_f16 v5, v36, v13, v4
	v_mul_f16_sdwa v4, v36, v13 dst_sel:DWORD dst_unused:UNUSED_PAD src0_sel:DWORD src1_sel:WORD_1
	v_fma_f16 v4, v3, v13, -v4
	ds_read2_b32 v[12:13], v65 offset0:86 offset1:211
	v_lshrrev_b32_e32 v6, 16, v2
	v_mul_f16_sdwa v3, v6, v14 dst_sel:DWORD dst_unused:UNUSED_PAD src0_sel:DWORD src1_sel:WORD_1
	v_fma_f16 v3, v2, v14, v3
	v_mul_f16_sdwa v2, v2, v14 dst_sel:DWORD dst_unused:UNUSED_PAD src0_sel:DWORD src1_sel:WORD_1
	v_fma_f16 v2, v6, v14, -v2
	s_waitcnt lgkmcnt(0)
	v_lshrrev_b32_e32 v7, 16, v12
	v_mul_f16_sdwa v6, v12, v15 dst_sel:DWORD dst_unused:UNUSED_PAD src0_sel:DWORD src1_sel:WORD_1
	v_fma_f16 v6, v7, v15, -v6
	v_mul_f16_sdwa v7, v7, v15 dst_sel:DWORD dst_unused:UNUSED_PAD src0_sel:DWORD src1_sel:WORD_1
	v_fma_f16 v7, v12, v15, v7
	ds_read2_b32 v[14:15], v71 offset0:74 offset1:199
	v_lshrrev_b32_e32 v12, 16, v13
	s_waitcnt vmcnt(5)
	v_mul_f16_sdwa v36, v12, v8 dst_sel:DWORD dst_unused:UNUSED_PAD src0_sel:DWORD src1_sel:WORD_1
	v_fma_f16 v36, v13, v8, v36
	v_mul_f16_sdwa v13, v13, v8 dst_sel:DWORD dst_unused:UNUSED_PAD src0_sel:DWORD src1_sel:WORD_1
	v_fma_f16 v65, v12, v8, -v13
	s_waitcnt lgkmcnt(0)
	v_lshrrev_b32_e32 v8, 16, v14
	ds_read2_b32 v[12:13], v66 offset0:68 offset1:193
	v_mul_f16_sdwa v66, v14, v9 dst_sel:DWORD dst_unused:UNUSED_PAD src0_sel:DWORD src1_sel:WORD_1
	v_fma_f16 v66, v8, v9, -v66
	v_mul_f16_sdwa v8, v8, v9 dst_sel:DWORD dst_unused:UNUSED_PAD src0_sel:DWORD src1_sel:WORD_1
	v_fma_f16 v14, v14, v9, v8
	ds_read2_b32 v[8:9], v64 offset0:56 offset1:181
	s_waitcnt lgkmcnt(1)
	v_lshrrev_b32_e32 v71, 16, v13
	v_mul_f16_sdwa v64, v13, v10 dst_sel:DWORD dst_unused:UNUSED_PAD src0_sel:DWORD src1_sel:WORD_1
	v_fma_f16 v64, v71, v10, -v64
	v_mul_f16_sdwa v71, v71, v10 dst_sel:DWORD dst_unused:UNUSED_PAD src0_sel:DWORD src1_sel:WORD_1
	v_fma_f16 v13, v13, v10, v71
	s_waitcnt lgkmcnt(0)
	v_lshrrev_b32_e32 v10, 16, v8
	v_mul_f16_sdwa v71, v8, v11 dst_sel:DWORD dst_unused:UNUSED_PAD src0_sel:DWORD src1_sel:WORD_1
	v_fma_f16 v71, v10, v11, -v71
	v_mul_f16_sdwa v10, v10, v11 dst_sel:DWORD dst_unused:UNUSED_PAD src0_sel:DWORD src1_sel:WORD_1
	v_fma_f16 v107, v8, v11, v10
	v_lshrrev_b32_e32 v8, 16, v15
	s_waitcnt vmcnt(4)
	v_mul_f16_sdwa v10, v8, v85 dst_sel:DWORD dst_unused:UNUSED_PAD src0_sel:DWORD src1_sel:WORD_1
	v_fma_f16 v108, v15, v85, v10
	v_mul_f16_sdwa v10, v15, v85 dst_sel:DWORD dst_unused:UNUSED_PAD src0_sel:DWORD src1_sel:WORD_1
	v_fma_f16 v15, v8, v85, -v10
	v_lshrrev_b32_e32 v8, 16, v9
	ds_read2_b32 v[10:11], v61 offset0:80 offset1:205
	v_mul_f16_sdwa v61, v8, v87 dst_sel:DWORD dst_unused:UNUSED_PAD src0_sel:DWORD src1_sel:WORD_1
	v_fma_f16 v61, v9, v87, v61
	v_mul_f16_sdwa v9, v9, v87 dst_sel:DWORD dst_unused:UNUSED_PAD src0_sel:DWORD src1_sel:WORD_1
	v_fma_f16 v85, v8, v87, -v9
	ds_read2_b32 v[8:9], v63 offset0:62 offset1:187
	s_waitcnt lgkmcnt(1)
	v_lshrrev_b32_e32 v87, 16, v10
	v_mul_f16_sdwa v63, v10, v84 dst_sel:DWORD dst_unused:UNUSED_PAD src0_sel:DWORD src1_sel:WORD_1
	v_fma_f16 v63, v87, v84, -v63
	v_mul_f16_sdwa v87, v87, v84 dst_sel:DWORD dst_unused:UNUSED_PAD src0_sel:DWORD src1_sel:WORD_1
	v_fma_f16 v84, v10, v84, v87
	s_waitcnt lgkmcnt(0)
	v_lshrrev_b32_e32 v10, 16, v8
	v_mul_f16_sdwa v87, v8, v86 dst_sel:DWORD dst_unused:UNUSED_PAD src0_sel:DWORD src1_sel:WORD_1
	v_fma_f16 v87, v10, v86, -v87
	v_mul_f16_sdwa v10, v10, v86 dst_sel:DWORD dst_unused:UNUSED_PAD src0_sel:DWORD src1_sel:WORD_1
	v_fma_f16 v86, v8, v86, v10
	v_lshrrev_b32_e32 v8, 16, v11
	s_waitcnt vmcnt(3)
	v_mul_f16_sdwa v10, v8, v88 dst_sel:DWORD dst_unused:UNUSED_PAD src0_sel:DWORD src1_sel:WORD_1
	v_fma_f16 v109, v11, v88, v10
	v_mul_f16_sdwa v10, v11, v88 dst_sel:DWORD dst_unused:UNUSED_PAD src0_sel:DWORD src1_sel:WORD_1
	v_fma_f16 v88, v8, v88, -v10
	v_lshrrev_b32_e32 v8, 16, v12
	v_mul_f16_sdwa v10, v8, v89 dst_sel:DWORD dst_unused:UNUSED_PAD src0_sel:DWORD src1_sel:WORD_1
	v_fma_f16 v110, v12, v89, v10
	v_mul_f16_sdwa v10, v12, v89 dst_sel:DWORD dst_unused:UNUSED_PAD src0_sel:DWORD src1_sel:WORD_1
	v_fma_f16 v12, v8, v89, -v10
	ds_read2_b32 v[10:11], v60 offset0:50 offset1:175
	v_lshrrev_b32_e32 v8, 16, v9
	v_mul_f16_sdwa v60, v8, v90 dst_sel:DWORD dst_unused:UNUSED_PAD src0_sel:DWORD src1_sel:WORD_1
	v_fma_f16 v60, v9, v90, v60
	v_mul_f16_sdwa v9, v9, v90 dst_sel:DWORD dst_unused:UNUSED_PAD src0_sel:DWORD src1_sel:WORD_1
	v_fma_f16 v89, v8, v90, -v9
	s_waitcnt lgkmcnt(0)
	v_lshrrev_b32_e32 v8, 16, v10
	v_mul_f16_sdwa v9, v10, v91 dst_sel:DWORD dst_unused:UNUSED_PAD src0_sel:DWORD src1_sel:WORD_1
	v_fma_f16 v90, v8, v91, -v9
	v_mul_f16_sdwa v8, v8, v91 dst_sel:DWORD dst_unused:UNUSED_PAD src0_sel:DWORD src1_sel:WORD_1
	v_fma_f16 v10, v10, v91, v8
	v_lshrrev_b32_e32 v8, 16, v11
	s_waitcnt vmcnt(2)
	v_mul_f16_sdwa v9, v8, v67 dst_sel:DWORD dst_unused:UNUSED_PAD src0_sel:DWORD src1_sel:WORD_1
	v_fma_f16 v91, v11, v67, v9
	v_mul_f16_sdwa v9, v11, v67 dst_sel:DWORD dst_unused:UNUSED_PAD src0_sel:DWORD src1_sel:WORD_1
	v_fma_f16 v11, v8, v67, -v9
	v_sub_f16_e32 v8, v95, v100
	v_sub_f16_e32 v9, v107, v14
	v_add_f16_e32 v67, v8, v9
	v_sub_f16_e32 v8, v96, v99
	v_sub_f16_e32 v9, v71, v66
	v_add_f16_e32 v111, v8, v9
	;; [unrolled: 3-line block ×4, first 2 shown]
	v_add_f16_e32 v9, v65, v64
	v_add_f16_e32 v8, v36, v13
	v_fma_f16 v117, v9, -0.5, v93
	v_sub_f16_e32 v118, v73, v91
	v_fma_f16 v114, v8, -0.5, v92
	v_sub_f16_e32 v115, v98, v11
	v_sub_f16_e32 v119, v36, v13
	v_fma_f16 v9, v118, s5, v117
	v_sub_f16_e32 v116, v65, v64
	v_fma_f16 v8, v115, s7, v114
	v_fma_f16 v9, v119, s4, v9
	;; [unrolled: 1-line block ×5, first 2 shown]
	v_mul_f16_e32 v120, 0xb8b4, v9
	v_mul_f16_e32 v9, 0xba79, v9
	v_fma_f16 v120, v8, s9, v120
	v_fma_f16 v121, v8, s8, v9
	v_mov_b32_e32 v8, 0xbb8
	v_cndmask_b32_e32 v8, 0, v8, vcc
	v_lshlrev_b32_e32 v9, 2, v80
	v_add3_u32 v80, 0, v8, v9
	v_add_f16_e32 v8, v100, v14
	v_fma_f16 v122, v8, -0.5, v97
	v_sub_f16_e32 v123, v96, v71
	v_sub_f16_e32 v124, v99, v66
	v_fma_f16 v8, v123, s7, v122
	v_fma_f16 v8, v124, s8, v8
	;; [unrolled: 1-line block ×3, first 2 shown]
	v_lshrrev_b32_e32 v126, 16, v97
	v_add_f16_e32 v8, v99, v66
	v_fma_f16 v127, v8, -0.5, v126
	v_sub_f16_e32 v128, v95, v107
	v_sub_f16_e32 v129, v100, v14
	v_fma_f16 v8, v128, s5, v127
	v_fma_f16 v8, v129, s4, v8
	;; [unrolled: 1-line block ×3, first 2 shown]
	v_add_f16_e32 v8, v125, v120
	v_add_f16_e32 v9, v130, v121
	v_pack_b32_f16 v131, v8, v9
	v_add_f16_e32 v8, v97, v95
	v_add_f16_e32 v8, v8, v100
	v_add_f16_e32 v8, v8, v14
	v_add_f16_e32 v132, v8, v107
	v_add_f16_e32 v8, v126, v96
	v_add_f16_e32 v8, v8, v99
	v_add_f16_e32 v8, v8, v66
	v_add_f16_e32 v133, v8, v71
	v_add_f16_e32 v8, v92, v73
	v_add_f16_e32 v8, v8, v36
	v_add_f16_e32 v8, v8, v13
	v_add_f16_e32 v134, v8, v91
	v_add_f16_e32 v8, v93, v98
	v_add_f16_e32 v8, v8, v65
	v_add_f16_e32 v8, v8, v64
	v_add_f16_e32 v135, v8, v11
	v_sub_f16_e32 v8, v132, v134
	v_sub_f16_e32 v9, v133, v135
	v_pack_b32_f16 v136, v8, v9
	ds_read2_b32 v[8:9], v62 offset0:44 offset1:169
	v_add_u32_e32 v62, 0x400, v80
	s_waitcnt vmcnt(0) lgkmcnt(0)
	s_barrier
	ds_write2_b32 v62, v131, v136 offset0:44 offset1:119
	v_fma_f16 v62, v123, s5, v122
	v_fma_f16 v62, v124, s4, v62
	v_sub_f16_e32 v36, v36, v73
	v_sub_f16_e32 v13, v13, v91
	v_fma_f16 v62, v67, s6, v62
	v_add_f16_e32 v67, v95, v107
	v_add_f16_e32 v13, v36, v13
	v_fma_f16 v36, v118, s7, v117
	v_fma_f16 v67, v67, -0.5, v97
	v_add_f16_e32 v97, v96, v71
	v_sub_f16_e32 v96, v99, v96
	v_sub_f16_e32 v66, v66, v71
	v_fma_f16 v71, v115, s5, v114
	v_fma_f16 v36, v119, s8, v36
	v_add_f16_e32 v66, v96, v66
	v_fma_f16 v71, v116, s4, v71
	v_add_f16_e32 v96, v73, v91
	;; [unrolled: 2-line block ×3, first 2 shown]
	v_fma_f16 v71, v112, s6, v71
	v_fma_f16 v73, v73, -0.5, v93
	v_sub_f16_e32 v11, v64, v11
	v_mul_f16_e32 v64, 0xb8b4, v36
	v_mul_f16_e32 v36, 0x3a79, v36
	v_sub_f16_e32 v95, v100, v95
	v_sub_f16_e32 v14, v14, v107
	v_fma_f16 v92, v96, -0.5, v92
	v_sub_f16_e32 v65, v65, v98
	v_fma_f16 v64, v71, s14, v64
	v_fma_f16 v36, v71, s8, v36
	;; [unrolled: 1-line block ×3, first 2 shown]
	v_add_f16_e32 v14, v95, v14
	v_fma_f16 v95, v128, s7, v127
	v_add_f16_e32 v11, v65, v11
	v_fma_f16 v65, v116, s7, v92
	v_fma_f16 v71, v118, s8, v71
	v_fma_f16 v95, v129, s8, v95
	v_fma_f16 v65, v115, s4, v65
	v_fma_f16 v71, v11, s6, v71
	v_fma_f16 v95, v111, s6, v95
	v_fma_f16 v65, v13, s6, v65
	v_mul_f16_e32 v91, 0xbb9c, v71
	v_mul_f16_e32 v71, 0x34f2, v71
	v_fma_f16 v97, v97, -0.5, v126
	v_fma_f16 v91, v65, s6, v91
	v_fma_f16 v65, v65, s7, v71
	v_sub_f16_e32 v71, v62, v64
	v_sub_f16_e32 v93, v95, v36
	v_pack_b32_f16 v71, v71, v93
	v_fma_f16 v93, v124, s7, v67
	v_fma_f16 v96, v129, s5, v97
	;; [unrolled: 1-line block ×6, first 2 shown]
	v_sub_f16_e32 v98, v93, v91
	v_sub_f16_e32 v99, v96, v65
	v_pack_b32_f16 v98, v98, v99
	v_add_u32_e32 v99, 0x600, v80
	v_add_f16_e32 v62, v62, v64
	v_add_f16_e32 v36, v95, v36
	ds_write2_b32 v99, v71, v98 offset0:66 offset1:141
	v_add_f16_e32 v71, v132, v134
	v_add_f16_e32 v64, v133, v135
	v_pack_b32_f16 v36, v62, v36
	v_fma_f16 v62, v116, s5, v92
	v_pack_b32_f16 v64, v71, v64
	v_fma_f16 v62, v115, s8, v62
	ds_write2_b32 v80, v64, v36 offset1:75
	v_fma_f16 v36, v124, s5, v67
	v_fma_f16 v13, v13, s6, v62
	;; [unrolled: 1-line block ×9, first 2 shown]
	v_add_f16_e32 v64, v96, v65
	v_mul_f16_e32 v65, 0xbb9c, v11
	v_mul_f16_e32 v11, 0xb4f2, v11
	v_fma_f16 v36, v66, s6, v36
	v_add_f16_e32 v62, v93, v91
	v_fma_f16 v65, v13, s15, v65
	v_fma_f16 v11, v13, s7, v11
	v_pack_b32_f16 v13, v62, v64
	v_add_f16_e32 v62, v14, v65
	v_add_f16_e32 v64, v36, v11
	v_pack_b32_f16 v62, v62, v64
	ds_write2_b32 v80, v13, v62 offset0:150 offset1:225
	v_sub_f16_e32 v13, v14, v65
	v_sub_f16_e32 v14, v125, v120
	;; [unrolled: 1-line block ×4, first 2 shown]
	v_pack_b32_f16 v11, v13, v11
	v_pack_b32_f16 v13, v14, v36
	v_add_u32_e32 v14, 0x800, v80
	ds_write2_b32 v14, v11, v13 offset0:88 offset1:163
	v_lshrrev_b32_e32 v11, 16, v8
	v_mul_f16_sdwa v13, v8, v82 dst_sel:DWORD dst_unused:UNUSED_PAD src0_sel:DWORD src1_sel:WORD_1
	v_fma_f16 v13, v11, v82, -v13
	v_mul_f16_sdwa v11, v11, v82 dst_sel:DWORD dst_unused:UNUSED_PAD src0_sel:DWORD src1_sel:WORD_1
	v_fma_f16 v8, v8, v82, v11
	v_sub_f16_e32 v11, v35, v101
	v_sub_f16_e32 v14, v61, v108
	v_add_f16_e32 v11, v11, v14
	v_sub_f16_e32 v14, v72, v102
	v_sub_f16_e32 v36, v85, v15
	v_add_f16_e32 v14, v14, v36
	;; [unrolled: 3-line block ×4, first 2 shown]
	v_add_f16_e32 v62, v62, v64
	v_add_f16_e32 v64, v84, v86
	v_fma_f16 v71, v71, -0.5, v103
	v_sub_f16_e32 v73, v106, v8
	v_fma_f16 v64, v64, -0.5, v104
	v_sub_f16_e32 v65, v105, v13
	v_sub_f16_e32 v80, v84, v86
	v_fma_f16 v82, v73, s5, v71
	v_sub_f16_e32 v66, v63, v87
	v_fma_f16 v67, v65, s7, v64
	v_fma_f16 v82, v80, s4, v82
	v_fma_f16 v67, v66, s8, v67
	v_fma_f16 v82, v62, s6, v82
	v_add_f16_e32 v78, v101, v108
	v_lshrrev_b32_e32 v93, 16, v94
	v_add_f16_e32 v95, v102, v15
	v_fma_f16 v67, v36, s6, v67
	v_mul_f16_e32 v91, 0xb8b4, v82
	v_mul_f16_e32 v82, 0xba79, v82
	v_fma_f16 v78, v78, -0.5, v94
	v_sub_f16_e32 v79, v72, v85
	v_fma_f16 v95, v95, -0.5, v93
	v_sub_f16_e32 v96, v35, v61
	v_fma_f16 v91, v67, s9, v91
	v_fma_f16 v67, v67, s8, v82
	v_sub_f16_e32 v82, v102, v15
	v_fma_f16 v92, v79, s7, v78
	v_sub_f16_e32 v97, v101, v108
	v_fma_f16 v98, v96, s5, v95
	v_fma_f16 v92, v82, s8, v92
	;; [unrolled: 1-line block ×5, first 2 shown]
	v_add_f16_e32 v99, v92, v91
	v_add_f16_e32 v100, v98, v67
	v_pack_b32_f16 v99, v99, v100
	v_add_f16_e32 v100, v94, v35
	v_add_f16_e32 v100, v100, v101
	v_fma_f16 v78, v79, s5, v78
	v_add_f16_e32 v100, v100, v108
	v_fma_f16 v78, v82, s4, v78
	;; [unrolled: 2-line block ×3, first 2 shown]
	v_add_f16_e32 v78, v35, v61
	v_sub_f16_e32 v35, v101, v35
	v_sub_f16_e32 v61, v108, v61
	v_add_f16_e32 v107, v93, v72
	v_add_f16_e32 v111, v104, v106
	v_add_f16_e32 v112, v103, v105
	v_add_f16_e32 v35, v35, v61
	v_fma_f16 v61, v96, s7, v95
	v_fma_f16 v71, v73, s7, v71
	v_add_f16_e32 v107, v107, v102
	v_add_f16_e32 v111, v111, v84
	;; [unrolled: 1-line block ×3, first 2 shown]
	v_fma_f16 v61, v97, s8, v61
	v_fma_f16 v64, v65, s5, v64
	v_fma_f16 v71, v80, s8, v71
	v_add_f16_e32 v107, v107, v15
	v_add_f16_e32 v111, v111, v86
	;; [unrolled: 1-line block ×3, first 2 shown]
	v_fma_f16 v14, v14, s6, v61
	v_add_f16_e32 v61, v72, v85
	v_sub_f16_e32 v72, v102, v72
	v_sub_f16_e32 v15, v15, v85
	v_fma_f16 v64, v66, s4, v64
	v_fma_f16 v62, v62, s6, v71
	v_add_f16_e32 v71, v105, v13
	v_add_f16_e32 v111, v111, v8
	;; [unrolled: 1-line block ×4, first 2 shown]
	v_fma_f16 v36, v36, s6, v64
	v_add_f16_e32 v64, v106, v8
	v_sub_f16_e32 v72, v84, v106
	v_sub_f16_e32 v8, v86, v8
	v_fma_f16 v71, v71, -0.5, v103
	v_sub_f16_e32 v63, v63, v105
	v_sub_f16_e32 v13, v87, v13
	v_fma_f16 v64, v64, -0.5, v104
	v_add_f16_e32 v8, v72, v8
	v_add_f16_e32 v13, v63, v13
	v_mul_f16_e32 v63, 0xb8b4, v62
	v_mul_f16_e32 v62, 0x3a79, v62
	v_fma_f16 v72, v80, s5, v71
	v_fma_f16 v63, v36, s14, v63
	;; [unrolled: 1-line block ×8, first 2 shown]
	v_mul_f16_e32 v84, 0xbb9c, v72
	v_mul_f16_e32 v72, 0x34f2, v72
	v_add_f16_e32 v107, v107, v85
	v_fma_f16 v78, v78, -0.5, v94
	v_fma_f16 v61, v61, -0.5, v93
	v_fma_f16 v84, v62, s6, v84
	v_fma_f16 v62, v62, s7, v72
	v_sub_f16_e32 v72, v11, v63
	v_sub_f16_e32 v85, v14, v36
	v_pack_b32_f16 v72, v72, v85
	v_fma_f16 v85, v82, s7, v78
	v_fma_f16 v86, v97, s5, v61
	v_add_f16_e32 v11, v11, v63
	v_add_f16_e32 v14, v14, v36
	v_fma_f16 v85, v79, s4, v85
	v_fma_f16 v86, v96, s8, v86
	v_pack_b32_f16 v11, v11, v14
	v_fma_f16 v14, v97, s7, v61
	v_fma_f16 v85, v35, s6, v85
	;; [unrolled: 1-line block ×4, first 2 shown]
	v_sub_f16_e32 v87, v85, v84
	v_sub_f16_e32 v93, v86, v62
	v_fma_f16 v14, v15, s6, v14
	v_fma_f16 v15, v66, s5, v64
	v_pack_b32_f16 v87, v87, v93
	v_add_u32_e32 v93, 0x600, v74
	v_fma_f16 v15, v65, s8, v15
	ds_write2_b32 v93, v72, v87 offset0:66 offset1:141
	v_add_f16_e32 v72, v100, v111
	v_add_f16_e32 v63, v107, v112
	v_fma_f16 v8, v8, s6, v15
	v_fma_f16 v15, v80, s7, v71
	v_pack_b32_f16 v36, v72, v63
	v_fma_f16 v15, v73, s4, v15
	ds_write2_b32 v74, v36, v11 offset1:75
	v_fma_f16 v11, v82, s5, v78
	v_fma_f16 v13, v13, s6, v15
	;; [unrolled: 1-line block ×3, first 2 shown]
	v_mul_f16_e32 v36, 0xbb9c, v13
	v_mul_f16_e32 v13, 0xb4f2, v13
	v_fma_f16 v11, v35, s6, v11
	v_add_f16_e32 v15, v85, v84
	v_add_f16_e32 v35, v86, v62
	v_fma_f16 v36, v8, s15, v36
	v_fma_f16 v8, v8, s7, v13
	v_pack_b32_f16 v13, v15, v35
	v_add_f16_e32 v15, v11, v36
	v_add_f16_e32 v35, v14, v8
	v_pack_b32_f16 v15, v15, v35
	ds_write2_b32 v74, v13, v15 offset0:150 offset1:225
	v_sub_f16_e32 v11, v11, v36
	v_sub_f16_e32 v13, v92, v91
	;; [unrolled: 1-line block ×4, first 2 shown]
	v_pack_b32_f16 v8, v11, v8
	v_pack_b32_f16 v11, v13, v14
	v_add_u32_e32 v13, 0x800, v74
	ds_write2_b32 v13, v8, v11 offset0:88 offset1:163
	v_lshrrev_b32_e32 v8, 16, v9
	v_mul_f16_sdwa v11, v8, v81 dst_sel:DWORD dst_unused:UNUSED_PAD src0_sel:DWORD src1_sel:WORD_1
	v_fma_f16 v11, v9, v81, v11
	v_mul_f16_sdwa v9, v9, v81 dst_sel:DWORD dst_unused:UNUSED_PAD src0_sel:DWORD src1_sel:WORD_1
	v_fma_f16 v8, v8, v81, -v9
	v_sub_f16_e32 v9, v5, v7
	v_sub_f16_e32 v13, v10, v110
	v_add_f16_e32 v9, v9, v13
	v_sub_f16_e32 v13, v4, v6
	v_sub_f16_e32 v14, v90, v12
	v_add_f16_e32 v13, v13, v14
	;; [unrolled: 3-line block ×4, first 2 shown]
	v_add_f16_e32 v15, v15, v35
	v_add_f16_e32 v35, v109, v60
	v_fma_f16 v63, v63, -0.5, v0
	v_sub_f16_e32 v64, v3, v11
	v_fma_f16 v35, v35, -0.5, v1
	v_sub_f16_e32 v36, v2, v8
	v_sub_f16_e32 v65, v109, v60
	v_fma_f16 v66, v64, s5, v63
	v_sub_f16_e32 v61, v88, v89
	v_fma_f16 v62, v36, s7, v35
	v_fma_f16 v66, v65, s4, v66
	;; [unrolled: 1-line block ×5, first 2 shown]
	v_mul_f16_e32 v67, 0xb8b4, v66
	v_mul_f16_e32 v66, 0xba79, v66
	v_sub_f16_e32 v113, v100, v111
	v_sub_f16_e32 v114, v107, v112
	v_fma_f16 v67, v62, s9, v67
	v_fma_f16 v62, v62, s8, v66
	v_lshlrev_b32_e32 v66, 2, v77
	v_pack_b32_f16 v113, v113, v114
	v_add_u32_e32 v114, 0x400, v74
	v_add3_u32 v33, 0, v33, v66
	v_add_f16_e32 v66, v7, v110
	v_lshrrev_b32_e32 v74, 16, v83
	v_add_f16_e32 v77, v6, v12
	v_fma_f16 v66, v66, -0.5, v83
	v_sub_f16_e32 v71, v4, v90
	v_fma_f16 v77, v77, -0.5, v74
	v_sub_f16_e32 v78, v5, v10
	v_sub_f16_e32 v72, v6, v12
	v_fma_f16 v73, v71, s7, v66
	v_sub_f16_e32 v79, v7, v110
	v_fma_f16 v80, v78, s5, v77
	v_fma_f16 v73, v72, s8, v73
	;; [unrolled: 1-line block ×5, first 2 shown]
	v_add_f16_e32 v81, v73, v67
	v_add_f16_e32 v82, v80, v62
	v_pack_b32_f16 v81, v81, v82
	v_add_f16_e32 v82, v83, v5
	v_add_f16_e32 v85, v1, v3
	;; [unrolled: 1-line block ×5, first 2 shown]
	v_fma_f16 v66, v71, s5, v66
	v_add_f16_e32 v82, v82, v110
	v_add_f16_e32 v84, v84, v6
	;; [unrolled: 1-line block ×3, first 2 shown]
	v_fma_f16 v66, v72, s4, v66
	v_add_f16_e32 v82, v82, v10
	v_add_f16_e32 v84, v84, v12
	;; [unrolled: 1-line block ×4, first 2 shown]
	v_fma_f16 v9, v9, s6, v66
	v_add_f16_e32 v66, v5, v10
	v_sub_f16_e32 v5, v7, v5
	v_sub_f16_e32 v7, v110, v10
	v_add_f16_e32 v10, v4, v90
	v_sub_f16_e32 v4, v6, v4
	v_sub_f16_e32 v6, v12, v90
	;; [unrolled: 3-line block ×3, first 2 shown]
	v_add_f16_e32 v86, v86, v88
	v_add_f16_e32 v3, v3, v11
	v_fma_f16 v11, v64, s7, v63
	v_add_f16_e32 v86, v86, v89
	v_add_f16_e32 v4, v4, v6
	v_fma_f16 v6, v36, s5, v35
	v_fma_f16 v1, v12, -0.5, v1
	v_fma_f16 v11, v65, s8, v11
	v_add_f16_e32 v12, v2, v8
	v_add_f16_e32 v86, v86, v8
	v_fma_f16 v6, v61, s4, v6
	v_fma_f16 v11, v15, s6, v11
	v_fma_f16 v0, v12, -0.5, v0
	v_sub_f16_e32 v2, v88, v2
	v_sub_f16_e32 v8, v89, v8
	v_fma_f16 v6, v14, s6, v6
	v_add_f16_e32 v2, v2, v8
	v_mul_f16_e32 v8, 0xb8b4, v11
	v_mul_f16_e32 v11, 0x3a79, v11
	v_fma_f16 v12, v65, s5, v0
	v_add_f16_e32 v5, v5, v7
	v_fma_f16 v7, v78, s7, v77
	v_fma_f16 v8, v6, s14, v8
	;; [unrolled: 1-line block ×10, first 2 shown]
	v_mul_f16_e32 v13, 0xbb9c, v12
	v_mul_f16_e32 v12, 0x34f2, v12
	v_fma_f16 v66, v66, -0.5, v83
	v_fma_f16 v10, v10, -0.5, v74
	v_fma_f16 v13, v11, s6, v13
	v_fma_f16 v11, v11, s7, v12
	v_sub_f16_e32 v12, v9, v8
	v_sub_f16_e32 v14, v7, v6
	v_pack_b32_f16 v12, v12, v14
	v_fma_f16 v14, v72, s7, v66
	v_fma_f16 v15, v79, s5, v10
	;; [unrolled: 1-line block ×6, first 2 shown]
	v_sub_f16_e32 v35, v14, v13
	v_sub_f16_e32 v60, v15, v11
	v_add_f16_e32 v84, v84, v90
	v_pack_b32_f16 v35, v35, v60
	v_add_u32_e32 v60, 0x600, v33
	ds_write2_b32 v114, v99, v113 offset0:44 offset1:119
	ds_write2_b32 v60, v12, v35 offset0:66 offset1:141
	v_add_f16_e32 v12, v82, v85
	v_add_f16_e32 v8, v9, v8
	;; [unrolled: 1-line block ×4, first 2 shown]
	v_pack_b32_f16 v7, v12, v9
	v_pack_b32_f16 v6, v8, v6
	ds_write2_b32 v33, v7, v6 offset1:75
	v_fma_f16 v6, v72, s5, v66
	v_fma_f16 v6, v71, s8, v6
	;; [unrolled: 1-line block ×12, first 2 shown]
	v_mul_f16_e32 v6, 0xbb9c, v0
	v_mul_f16_e32 v0, 0xb4f2, v0
	v_add_f16_e32 v2, v14, v13
	v_add_f16_e32 v3, v15, v11
	v_fma_f16 v6, v1, s15, v6
	v_fma_f16 v0, v1, s7, v0
	v_pack_b32_f16 v1, v2, v3
	v_add_f16_e32 v2, v5, v6
	v_add_f16_e32 v3, v4, v0
	v_pack_b32_f16 v2, v2, v3
	v_sub_f16_e32 v87, v82, v85
	v_sub_f16_e32 v91, v84, v86
	ds_write2_b32 v33, v1, v2 offset0:150 offset1:225
	v_sub_f16_e32 v1, v5, v6
	v_sub_f16_e32 v2, v73, v67
	;; [unrolled: 1-line block ×4, first 2 shown]
	v_pack_b32_f16 v87, v87, v91
	v_add_u32_e32 v91, 0x400, v33
	v_pack_b32_f16 v0, v1, v0
	v_pack_b32_f16 v1, v2, v3
	v_add_u32_e32 v2, 0x800, v33
	v_lshlrev_b32_e32 v33, 2, v20
	ds_write2_b32 v2, v0, v1 offset0:88 offset1:163
	v_lshlrev_b64 v[0:1], 2, v[33:34]
	ds_write2_b32 v91, v81, v87 offset0:44 offset1:119
	v_add_co_u32_e32 v0, vcc, s12, v0
	v_addc_co_u32_e32 v1, vcc, v76, v1, vcc
	s_waitcnt lgkmcnt(0)
	s_barrier
	global_load_dwordx4 v[0:3], v[0:1], off offset:2988
	v_lshlrev_b32_e32 v33, 2, v31
	v_lshlrev_b64 v[4:5], 2, v[33:34]
	v_lshlrev_b32_e32 v33, 2, v30
	v_add_co_u32_e32 v4, vcc, s12, v4
	v_addc_co_u32_e32 v5, vcc, v76, v5, vcc
	global_load_dwordx4 v[4:7], v[4:5], off offset:2988
	v_lshlrev_b64 v[8:9], 2, v[33:34]
	v_lshlrev_b32_e32 v33, 2, v25
	v_add_co_u32_e32 v8, vcc, s12, v8
	v_addc_co_u32_e32 v9, vcc, v76, v9, vcc
	global_load_dwordx4 v[8:11], v[8:9], off offset:2988
	v_lshlrev_b64 v[35:36], 2, v[33:34]
	ds_read2_b32 v[12:13], v51 offset0:107 offset1:232
	v_add_co_u32_e32 v35, vcc, s12, v35
	ds_read2_b32 v[14:15], v52 offset0:89 offset1:214
	v_addc_co_u32_e32 v36, vcc, v76, v36, vcc
	v_mov_b32_e32 v33, v34
	global_load_dwordx4 v[71:74], v[35:36], off offset:2988
	v_lshlrev_b64 v[35:36], 2, v[32:33]
	s_waitcnt lgkmcnt(1)
	v_lshrrev_b32_e32 v51, 16, v12
	v_add_co_u32_e32 v35, vcc, s12, v35
	v_addc_co_u32_e32 v36, vcc, v76, v36, vcc
	global_load_dwordx4 v[77:80], v[35:36], off offset:2988
	ds_read2_b32 v[35:36], v54 offset0:71 offset1:196
	s_waitcnt vmcnt(4)
	v_mul_f16_sdwa v33, v12, v0 dst_sel:DWORD dst_unused:UNUSED_PAD src0_sel:DWORD src1_sel:WORD_1
	v_fma_f16 v85, v51, v0, -v33
	v_mul_f16_sdwa v33, v51, v0 dst_sel:DWORD dst_unused:UNUSED_PAD src0_sel:DWORD src1_sel:WORD_1
	v_fma_f16 v86, v12, v0, v33
	s_waitcnt lgkmcnt(1)
	v_lshrrev_b32_e32 v0, 16, v14
	v_mul_f16_sdwa v12, v14, v1 dst_sel:DWORD dst_unused:UNUSED_PAD src0_sel:DWORD src1_sel:WORD_1
	v_fma_f16 v87, v0, v1, -v12
	v_mul_f16_sdwa v0, v0, v1 dst_sel:DWORD dst_unused:UNUSED_PAD src0_sel:DWORD src1_sel:WORD_1
	v_fma_f16 v88, v14, v1, v0
	ds_read2_b32 v[0:1], v55 offset0:53 offset1:178
	s_waitcnt lgkmcnt(1)
	v_lshrrev_b32_e32 v12, 16, v35
	v_mul_f16_sdwa v14, v35, v2 dst_sel:DWORD dst_unused:UNUSED_PAD src0_sel:DWORD src1_sel:WORD_1
	v_fma_f16 v89, v12, v2, -v14
	v_mul_f16_sdwa v12, v12, v2 dst_sel:DWORD dst_unused:UNUSED_PAD src0_sel:DWORD src1_sel:WORD_1
	v_fma_f16 v90, v35, v2, v12
	s_waitcnt lgkmcnt(0)
	v_lshrrev_b32_e32 v2, 16, v0
	v_mul_f16_sdwa v12, v0, v3 dst_sel:DWORD dst_unused:UNUSED_PAD src0_sel:DWORD src1_sel:WORD_1
	v_fma_f16 v91, v2, v3, -v12
	v_mul_f16_sdwa v2, v2, v3 dst_sel:DWORD dst_unused:UNUSED_PAD src0_sel:DWORD src1_sel:WORD_1
	v_fma_f16 v92, v0, v3, v2
	v_lshrrev_b32_e32 v0, 16, v13
	s_waitcnt vmcnt(3)
	v_mul_f16_sdwa v2, v0, v4 dst_sel:DWORD dst_unused:UNUSED_PAD src0_sel:DWORD src1_sel:WORD_1
	v_fma_f16 v63, v13, v4, v2
	v_mul_f16_sdwa v2, v13, v4 dst_sel:DWORD dst_unused:UNUSED_PAD src0_sel:DWORD src1_sel:WORD_1
	v_fma_f16 v60, v0, v4, -v2
	v_lshrrev_b32_e32 v0, 16, v15
	v_mul_f16_sdwa v2, v0, v5 dst_sel:DWORD dst_unused:UNUSED_PAD src0_sel:DWORD src1_sel:WORD_1
	v_fma_f16 v65, v15, v5, v2
	v_mul_f16_sdwa v2, v15, v5 dst_sel:DWORD dst_unused:UNUSED_PAD src0_sel:DWORD src1_sel:WORD_1
	v_fma_f16 v61, v0, v5, -v2
	v_lshrrev_b32_e32 v0, 16, v36
	v_mul_f16_sdwa v2, v0, v6 dst_sel:DWORD dst_unused:UNUSED_PAD src0_sel:DWORD src1_sel:WORD_1
	v_fma_f16 v66, v36, v6, v2
	v_mul_f16_sdwa v2, v36, v6 dst_sel:DWORD dst_unused:UNUSED_PAD src0_sel:DWORD src1_sel:WORD_1
	v_lshlrev_b32_e32 v33, 2, v27
	v_fma_f16 v62, v0, v6, -v2
	v_lshlrev_b64 v[2:3], 2, v[33:34]
	v_lshrrev_b32_e32 v0, 16, v1
	v_add_co_u32_e32 v2, vcc, s12, v2
	v_addc_co_u32_e32 v3, vcc, v76, v3, vcc
	global_load_dwordx4 v[81:84], v[2:3], off offset:2988
	ds_read2_b32 v[2:3], v53 offset0:101 offset1:226
	v_mul_f16_sdwa v4, v0, v7 dst_sel:DWORD dst_unused:UNUSED_PAD src0_sel:DWORD src1_sel:WORD_1
	v_fma_f16 v67, v1, v7, v4
	v_mul_f16_sdwa v1, v1, v7 dst_sel:DWORD dst_unused:UNUSED_PAD src0_sel:DWORD src1_sel:WORD_1
	v_fma_f16 v64, v0, v7, -v1
	ds_read2_b32 v[0:1], v56 offset0:83 offset1:208
	s_waitcnt lgkmcnt(1)
	v_lshrrev_b32_e32 v4, 16, v2
	s_waitcnt vmcnt(3)
	v_mul_f16_sdwa v5, v2, v8 dst_sel:DWORD dst_unused:UNUSED_PAD src0_sel:DWORD src1_sel:WORD_1
	v_fma_f16 v35, v4, v8, -v5
	ds_read2_b32 v[5:6], v58 offset0:65 offset1:190
	v_mul_f16_sdwa v4, v4, v8 dst_sel:DWORD dst_unused:UNUSED_PAD src0_sel:DWORD src1_sel:WORD_1
	v_fma_f16 v54, v2, v8, v4
	ds_read2_b32 v[7:8], v59 offset0:47 offset1:172
	s_waitcnt lgkmcnt(2)
	v_lshrrev_b32_e32 v2, 16, v0
	v_mul_f16_sdwa v4, v0, v9 dst_sel:DWORD dst_unused:UNUSED_PAD src0_sel:DWORD src1_sel:WORD_1
	v_fma_f16 v51, v2, v9, -v4
	v_mul_f16_sdwa v2, v2, v9 dst_sel:DWORD dst_unused:UNUSED_PAD src0_sel:DWORD src1_sel:WORD_1
	v_fma_f16 v55, v0, v9, v2
	s_waitcnt lgkmcnt(1)
	v_lshrrev_b32_e32 v0, 16, v5
	v_mul_f16_sdwa v2, v5, v10 dst_sel:DWORD dst_unused:UNUSED_PAD src0_sel:DWORD src1_sel:WORD_1
	v_fma_f16 v52, v0, v10, -v2
	v_mul_f16_sdwa v0, v0, v10 dst_sel:DWORD dst_unused:UNUSED_PAD src0_sel:DWORD src1_sel:WORD_1
	v_fma_f16 v56, v5, v10, v0
	;; [unrolled: 6-line block ×3, first 2 shown]
	v_lshrrev_b32_e32 v0, 16, v3
	s_waitcnt vmcnt(2)
	v_mul_f16_sdwa v2, v0, v71 dst_sel:DWORD dst_unused:UNUSED_PAD src0_sel:DWORD src1_sel:WORD_1
	v_fma_f16 v10, v3, v71, v2
	v_mul_f16_sdwa v2, v3, v71 dst_sel:DWORD dst_unused:UNUSED_PAD src0_sel:DWORD src1_sel:WORD_1
	v_fma_f16 v2, v0, v71, -v2
	v_lshrrev_b32_e32 v0, 16, v1
	v_mul_f16_sdwa v3, v0, v72 dst_sel:DWORD dst_unused:UNUSED_PAD src0_sel:DWORD src1_sel:WORD_1
	v_fma_f16 v11, v1, v72, v3
	v_mul_f16_sdwa v1, v1, v72 dst_sel:DWORD dst_unused:UNUSED_PAD src0_sel:DWORD src1_sel:WORD_1
	v_fma_f16 v5, v0, v72, -v1
	v_lshrrev_b32_e32 v0, 16, v6
	;; [unrolled: 5-line block ×3, first 2 shown]
	v_mul_f16_sdwa v1, v0, v74 dst_sel:DWORD dst_unused:UNUSED_PAD src0_sel:DWORD src1_sel:WORD_1
	v_fma_f16 v15, v8, v74, v1
	v_mul_f16_sdwa v1, v8, v74 dst_sel:DWORD dst_unused:UNUSED_PAD src0_sel:DWORD src1_sel:WORD_1
	v_fma_f16 v8, v0, v74, -v1
	ds_read_b32 v1, v57
	ds_read_b32 v73, v50
	;; [unrolled: 1-line block ×6, first 2 shown]
	ds_read_b32 v14, v37 offset:14500
	ds_read2_b32 v[3:4], v70 offset0:95 offset1:220
	s_waitcnt lgkmcnt(7)
	v_lshrrev_b32_e32 v7, 16, v1
	ds_read2_b32 v[69:70], v69 offset0:77 offset1:202
	s_waitcnt vmcnt(1)
	v_mul_f16_sdwa v9, v77, v7 dst_sel:DWORD dst_unused:UNUSED_PAD src0_sel:WORD_1 src1_sel:DWORD
	v_fma_f16 v74, v77, v1, v9
	v_mul_f16_sdwa v1, v77, v1 dst_sel:DWORD dst_unused:UNUSED_PAD src0_sel:WORD_1 src1_sel:DWORD
	ds_read2_b32 v[71:72], v68 offset0:59 offset1:184
	v_fma_f16 v76, v77, v7, -v1
	s_waitcnt lgkmcnt(2)
	v_lshrrev_b32_e32 v1, 16, v4
	v_mul_f16_sdwa v7, v78, v4 dst_sel:DWORD dst_unused:UNUSED_PAD src0_sel:WORD_1 src1_sel:DWORD
	v_fma_f16 v77, v78, v1, -v7
	v_mul_f16_sdwa v1, v78, v1 dst_sel:DWORD dst_unused:UNUSED_PAD src0_sel:WORD_1 src1_sel:DWORD
	v_fma_f16 v78, v78, v4, v1
	s_waitcnt lgkmcnt(1)
	v_lshrrev_b32_e32 v1, 16, v70
	v_mul_f16_sdwa v4, v79, v70 dst_sel:DWORD dst_unused:UNUSED_PAD src0_sel:WORD_1 src1_sel:DWORD
	v_fma_f16 v68, v79, v1, -v4
	v_mul_f16_sdwa v1, v79, v1 dst_sel:DWORD dst_unused:UNUSED_PAD src0_sel:WORD_1 src1_sel:DWORD
	v_fma_f16 v70, v79, v70, v1
	s_waitcnt lgkmcnt(0)
	v_lshrrev_b32_e32 v1, 16, v72
	v_mul_f16_sdwa v4, v72, v80 dst_sel:DWORD dst_unused:UNUSED_PAD src0_sel:DWORD src1_sel:WORD_1
	v_fma_f16 v79, v1, v80, -v4
	v_mul_f16_sdwa v1, v1, v80 dst_sel:DWORD dst_unused:UNUSED_PAD src0_sel:DWORD src1_sel:WORD_1
	v_fma_f16 v72, v72, v80, v1
	v_lshrrev_b32_e32 v1, 16, v3
	v_sub_f16_e32 v80, v72, v70
	v_cmp_ne_u32_e32 vcc, 0, v18
	s_waitcnt vmcnt(0)
	v_mul_f16_sdwa v4, v1, v81 dst_sel:DWORD dst_unused:UNUSED_PAD src0_sel:DWORD src1_sel:WORD_1
	v_fma_f16 v7, v3, v81, v4
	v_mul_f16_sdwa v3, v3, v81 dst_sel:DWORD dst_unused:UNUSED_PAD src0_sel:DWORD src1_sel:WORD_1
	v_fma_f16 v1, v1, v81, -v3
	v_lshrrev_b32_e32 v3, 16, v69
	v_mul_f16_sdwa v4, v3, v82 dst_sel:DWORD dst_unused:UNUSED_PAD src0_sel:DWORD src1_sel:WORD_1
	v_fma_f16 v9, v69, v82, v4
	v_mul_f16_sdwa v4, v69, v82 dst_sel:DWORD dst_unused:UNUSED_PAD src0_sel:DWORD src1_sel:WORD_1
	v_fma_f16 v3, v3, v82, -v4
	v_lshrrev_b32_e32 v4, 16, v71
	v_mul_f16_sdwa v12, v4, v83 dst_sel:DWORD dst_unused:UNUSED_PAD src0_sel:DWORD src1_sel:WORD_1
	v_fma_f16 v12, v71, v83, v12
	v_mul_f16_sdwa v36, v71, v83 dst_sel:DWORD dst_unused:UNUSED_PAD src0_sel:DWORD src1_sel:WORD_1
	ds_read_b32 v69, v37
	v_lshrrev_b32_e32 v71, 16, v14
	v_fma_f16 v4, v4, v83, -v36
	v_mul_f16_sdwa v36, v71, v84 dst_sel:DWORD dst_unused:UNUSED_PAD src0_sel:DWORD src1_sel:WORD_1
	v_fma_f16 v36, v14, v84, v36
	v_mul_f16_sdwa v14, v14, v84 dst_sel:DWORD dst_unused:UNUSED_PAD src0_sel:DWORD src1_sel:WORD_1
	v_fma_f16 v14, v71, v84, -v14
	v_sub_f16_e32 v71, v74, v78
	v_add_f16_e32 v71, v71, v80
	v_add_f16_e32 v80, v78, v70
	s_waitcnt lgkmcnt(0)
	v_fma_f16 v80, v80, -0.5, v69
	v_sub_f16_e32 v81, v76, v79
	v_fma_f16 v82, v81, s5, v80
	v_sub_f16_e32 v83, v77, v68
	v_fma_f16 v80, v81, s7, v80
	v_fma_f16 v82, v83, s4, v82
	;; [unrolled: 1-line block ×5, first 2 shown]
	v_sub_f16_e32 v80, v78, v74
	v_sub_f16_e32 v84, v70, v72
	v_add_f16_e32 v80, v80, v84
	v_add_f16_e32 v84, v74, v72
	v_fma_f16 v84, v84, -0.5, v69
	v_fma_f16 v93, v83, s7, v84
	v_fma_f16 v83, v83, s5, v84
	v_fma_f16 v84, v81, s4, v93
	v_fma_f16 v81, v81, s8, v83
	v_fma_f16 v83, v80, s6, v84
	v_fma_f16 v80, v80, s6, v81
	v_add_f16_e32 v81, v69, v74
	v_add_f16_e32 v81, v81, v78
	;; [unrolled: 1-line block ×4, first 2 shown]
	v_sub_f16_e32 v72, v74, v72
	v_sub_f16_e32 v70, v78, v70
	;; [unrolled: 1-line block ×4, first 2 shown]
	v_add_f16_e32 v74, v74, v78
	v_lshrrev_b32_e32 v69, 16, v69
	v_add_f16_e32 v78, v77, v68
	v_fma_f16 v78, v78, -0.5, v69
	v_fma_f16 v84, v72, s7, v78
	v_fma_f16 v78, v72, s5, v78
	;; [unrolled: 1-line block ×6, first 2 shown]
	v_add_f16_e32 v78, v76, v79
	v_fma_f16 v78, v78, -0.5, v69
	v_add_f16_e32 v69, v69, v76
	v_add_f16_e32 v69, v69, v77
	v_sub_f16_e32 v76, v77, v76
	v_add_f16_e32 v69, v69, v68
	v_sub_f16_e32 v68, v68, v79
	v_add_f16_e32 v68, v76, v68
	v_fma_f16 v76, v70, s5, v78
	v_fma_f16 v70, v70, s7, v78
	;; [unrolled: 1-line block ×6, first 2 shown]
	v_sub_f16_e32 v70, v86, v88
	v_sub_f16_e32 v76, v92, v90
	v_add_f16_e32 v70, v70, v76
	v_add_f16_e32 v76, v88, v90
	v_fma_f16 v76, v76, -0.5, v73
	v_sub_f16_e32 v77, v85, v91
	v_add_f16_e32 v69, v69, v79
	v_fma_f16 v78, v77, s5, v76
	v_sub_f16_e32 v79, v87, v89
	v_fma_f16 v76, v77, s7, v76
	v_fma_f16 v78, v79, s4, v78
	;; [unrolled: 1-line block ×5, first 2 shown]
	v_sub_f16_e32 v76, v88, v86
	v_sub_f16_e32 v93, v90, v92
	v_add_f16_e32 v76, v76, v93
	v_add_f16_e32 v93, v86, v92
	v_fma_f16 v93, v93, -0.5, v73
	v_fma_f16 v94, v79, s7, v93
	v_fma_f16 v79, v79, s5, v93
	;; [unrolled: 1-line block ×6, first 2 shown]
	v_add_f16_e32 v77, v73, v86
	v_add_f16_e32 v77, v77, v88
	;; [unrolled: 1-line block ×4, first 2 shown]
	v_sub_f16_e32 v86, v86, v92
	v_sub_f16_e32 v88, v88, v90
	;; [unrolled: 1-line block ×4, first 2 shown]
	v_add_f16_e32 v90, v90, v92
	v_lshrrev_b32_e32 v73, 16, v73
	v_add_f16_e32 v92, v87, v89
	v_fma_f16 v92, v92, -0.5, v73
	v_fma_f16 v93, v86, s7, v92
	v_fma_f16 v92, v86, s5, v92
	;; [unrolled: 1-line block ×6, first 2 shown]
	v_add_f16_e32 v92, v85, v91
	v_fma_f16 v92, v92, -0.5, v73
	v_add_f16_e32 v73, v73, v85
	v_add_f16_e32 v73, v73, v87
	v_sub_f16_e32 v85, v87, v85
	v_add_f16_e32 v73, v73, v89
	v_sub_f16_e32 v87, v89, v91
	v_pack_b32_f16 v69, v81, v69
	v_pack_b32_f16 v68, v80, v68
	v_add_f16_e32 v73, v73, v91
	v_add_f16_e32 v85, v85, v87
	v_fma_f16 v87, v88, s5, v92
	s_barrier
	ds_write_b32 v37, v69
	v_pack_b32_f16 v69, v82, v84
	ds_write_b32 v37, v68 offset:9000
	v_pack_b32_f16 v68, v71, v74
	v_fma_f16 v88, v88, s7, v92
	v_fma_f16 v87, v86, s8, v87
	ds_write_b32 v37, v69 offset:3000
	v_pack_b32_f16 v69, v83, v72
	ds_write_b32 v37, v68 offset:12000
	v_pack_b32_f16 v68, v77, v73
	v_fma_f16 v86, v86, s4, v88
	v_fma_f16 v87, v85, s6, v87
	ds_write_b32 v37, v69 offset:6000
	ds_write_b32 v50, v68
	v_pack_b32_f16 v68, v78, v93
	v_fma_f16 v85, v85, s6, v86
	ds_write_b32 v50, v68 offset:3000
	v_pack_b32_f16 v68, v79, v87
	ds_write_b32 v50, v68 offset:6000
	v_pack_b32_f16 v68, v76, v85
	;; [unrolled: 2-line block ×3, first 2 shown]
	ds_write_b32 v50, v68 offset:12000
	v_sub_f16_e32 v50, v63, v65
	v_sub_f16_e32 v68, v67, v66
	v_add_f16_e32 v50, v50, v68
	v_add_f16_e32 v68, v65, v66
	v_fma_f16 v68, v68, -0.5, v59
	v_sub_f16_e32 v69, v60, v64
	v_fma_f16 v70, v69, s5, v68
	v_sub_f16_e32 v71, v61, v62
	v_fma_f16 v68, v69, s7, v68
	v_fma_f16 v70, v71, s4, v70
	;; [unrolled: 1-line block ×5, first 2 shown]
	v_sub_f16_e32 v68, v65, v63
	v_sub_f16_e32 v72, v66, v67
	v_add_f16_e32 v68, v68, v72
	v_add_f16_e32 v72, v63, v67
	v_fma_f16 v72, v72, -0.5, v59
	v_fma_f16 v73, v71, s7, v72
	v_fma_f16 v71, v71, s5, v72
	;; [unrolled: 1-line block ×6, first 2 shown]
	v_add_f16_e32 v69, v59, v63
	v_add_f16_e32 v69, v69, v65
	;; [unrolled: 1-line block ×4, first 2 shown]
	v_sub_f16_e32 v63, v63, v67
	v_sub_f16_e32 v65, v65, v66
	;; [unrolled: 1-line block ×4, first 2 shown]
	v_add_f16_e32 v66, v66, v67
	v_lshrrev_b32_e32 v59, 16, v59
	v_add_f16_e32 v67, v61, v62
	v_fma_f16 v67, v67, -0.5, v59
	v_fma_f16 v72, v63, s7, v67
	v_fma_f16 v67, v63, s5, v67
	;; [unrolled: 1-line block ×6, first 2 shown]
	v_add_f16_e32 v67, v60, v64
	v_fma_f16 v67, v67, -0.5, v59
	v_add_f16_e32 v59, v59, v60
	v_add_f16_e32 v59, v59, v61
	v_sub_f16_e32 v60, v61, v60
	v_add_f16_e32 v59, v59, v62
	v_sub_f16_e32 v61, v62, v64
	v_add_f16_e32 v59, v59, v64
	v_add_f16_e32 v60, v60, v61
	v_fma_f16 v61, v65, s5, v67
	v_fma_f16 v62, v65, s7, v67
	v_fma_f16 v61, v63, s8, v61
	v_pack_b32_f16 v59, v69, v59
	v_fma_f16 v62, v63, s4, v62
	v_fma_f16 v61, v60, s6, v61
	ds_write_b32 v49, v59
	v_pack_b32_f16 v59, v70, v72
	v_fma_f16 v60, v60, s6, v62
	ds_write_b32 v49, v59 offset:3000
	v_pack_b32_f16 v59, v71, v61
	ds_write_b32 v49, v59 offset:6000
	v_pack_b32_f16 v59, v68, v60
	v_pack_b32_f16 v50, v50, v66
	ds_write_b32 v49, v59 offset:9000
	ds_write_b32 v49, v50 offset:12000
	v_sub_f16_e32 v49, v54, v55
	v_sub_f16_e32 v50, v58, v56
	v_add_f16_e32 v49, v49, v50
	v_add_f16_e32 v50, v55, v56
	v_fma_f16 v50, v50, -0.5, v57
	v_sub_f16_e32 v59, v35, v53
	v_fma_f16 v60, v59, s5, v50
	v_sub_f16_e32 v61, v51, v52
	v_fma_f16 v50, v59, s7, v50
	v_fma_f16 v60, v61, s4, v60
	;; [unrolled: 1-line block ×5, first 2 shown]
	v_sub_f16_e32 v50, v55, v54
	v_sub_f16_e32 v62, v56, v58
	v_add_f16_e32 v50, v50, v62
	v_add_f16_e32 v62, v54, v58
	v_fma_f16 v62, v62, -0.5, v57
	v_fma_f16 v63, v61, s7, v62
	v_fma_f16 v61, v61, s5, v62
	;; [unrolled: 1-line block ×6, first 2 shown]
	v_add_f16_e32 v59, v57, v54
	v_add_f16_e32 v59, v59, v55
	;; [unrolled: 1-line block ×4, first 2 shown]
	v_sub_f16_e32 v54, v54, v58
	v_sub_f16_e32 v55, v55, v56
	;; [unrolled: 1-line block ×4, first 2 shown]
	v_add_f16_e32 v56, v56, v58
	v_lshrrev_b32_e32 v57, 16, v57
	v_add_f16_e32 v58, v51, v52
	v_fma_f16 v58, v58, -0.5, v57
	v_fma_f16 v62, v54, s7, v58
	v_fma_f16 v58, v54, s5, v58
	;; [unrolled: 1-line block ×6, first 2 shown]
	v_add_f16_e32 v58, v35, v53
	v_fma_f16 v58, v58, -0.5, v57
	v_add_f16_e32 v57, v57, v35
	v_add_f16_e32 v57, v57, v51
	v_sub_f16_e32 v35, v51, v35
	v_add_f16_e32 v51, v57, v52
	v_sub_f16_e32 v52, v52, v53
	v_add_f16_e32 v51, v51, v53
	v_add_f16_e32 v35, v35, v52
	v_fma_f16 v52, v55, s5, v58
	v_fma_f16 v53, v55, s7, v58
	;; [unrolled: 1-line block ×6, first 2 shown]
	v_pack_b32_f16 v51, v59, v51
	ds_write_b32 v48, v51
	v_pack_b32_f16 v51, v60, v62
	v_pack_b32_f16 v35, v50, v35
	ds_write_b32 v48, v51 offset:3000
	v_pack_b32_f16 v51, v61, v52
	ds_write_b32 v48, v35 offset:9000
	;; [unrolled: 2-line block ×3, first 2 shown]
	ds_write_b32 v48, v35 offset:12000
	v_sub_f16_e32 v35, v10, v11
	v_sub_f16_e32 v48, v15, v13
	v_add_f16_e32 v35, v35, v48
	v_add_f16_e32 v48, v11, v13
	v_fma_f16 v48, v48, -0.5, v33
	v_sub_f16_e32 v49, v2, v8
	v_fma_f16 v50, v49, s5, v48
	v_sub_f16_e32 v51, v5, v6
	v_fma_f16 v48, v49, s7, v48
	v_fma_f16 v50, v51, s4, v50
	;; [unrolled: 1-line block ×5, first 2 shown]
	v_sub_f16_e32 v48, v11, v10
	v_sub_f16_e32 v52, v13, v15
	v_add_f16_e32 v48, v48, v52
	v_add_f16_e32 v52, v10, v15
	v_fma_f16 v52, v52, -0.5, v33
	v_fma_f16 v53, v51, s7, v52
	v_fma_f16 v51, v51, s5, v52
	;; [unrolled: 1-line block ×6, first 2 shown]
	v_add_f16_e32 v49, v33, v10
	v_add_f16_e32 v49, v49, v11
	;; [unrolled: 1-line block ×4, first 2 shown]
	v_sub_f16_e32 v10, v10, v15
	v_sub_f16_e32 v11, v11, v13
	v_sub_f16_e32 v13, v2, v5
	v_sub_f16_e32 v15, v8, v6
	v_add_f16_e32 v13, v13, v15
	v_lshrrev_b32_e32 v15, 16, v33
	v_add_f16_e32 v33, v5, v6
	v_fma_f16 v33, v33, -0.5, v15
	v_fma_f16 v52, v10, s7, v33
	v_fma_f16 v33, v10, s5, v33
	;; [unrolled: 1-line block ×6, first 2 shown]
	v_add_f16_e32 v33, v2, v8
	v_fma_f16 v33, v33, -0.5, v15
	v_add_f16_e32 v15, v15, v2
	v_add_f16_e32 v15, v15, v5
	v_sub_f16_e32 v2, v5, v2
	v_add_f16_e32 v5, v15, v6
	v_sub_f16_e32 v6, v6, v8
	v_add_f16_e32 v5, v5, v8
	v_add_f16_e32 v2, v2, v6
	v_fma_f16 v6, v11, s5, v33
	v_fma_f16 v8, v11, s7, v33
	;; [unrolled: 1-line block ×6, first 2 shown]
	v_pack_b32_f16 v5, v49, v5
	ds_write_b32 v47, v5
	v_pack_b32_f16 v5, v50, v52
	v_pack_b32_f16 v2, v48, v2
	ds_write_b32 v47, v5 offset:3000
	v_pack_b32_f16 v5, v51, v6
	ds_write_b32 v47, v2 offset:9000
	v_pack_b32_f16 v2, v35, v13
	ds_write_b32 v47, v5 offset:6000
	ds_write_b32 v47, v2 offset:12000
	v_sub_f16_e32 v2, v7, v9
	v_sub_f16_e32 v5, v36, v12
	v_add_f16_e32 v2, v2, v5
	v_add_f16_e32 v5, v9, v12
	v_fma_f16 v5, v5, -0.5, v0
	v_sub_f16_e32 v6, v1, v14
	v_fma_f16 v8, v6, s5, v5
	v_sub_f16_e32 v10, v3, v4
	v_fma_f16 v5, v6, s7, v5
	v_fma_f16 v8, v10, s4, v8
	;; [unrolled: 1-line block ×5, first 2 shown]
	v_sub_f16_e32 v5, v9, v7
	v_sub_f16_e32 v11, v12, v36
	v_add_f16_e32 v5, v5, v11
	v_add_f16_e32 v11, v7, v36
	v_fma_f16 v11, v11, -0.5, v0
	v_fma_f16 v13, v10, s7, v11
	v_fma_f16 v10, v10, s5, v11
	;; [unrolled: 1-line block ×6, first 2 shown]
	v_add_f16_e32 v6, v0, v7
	v_add_f16_e32 v6, v6, v9
	;; [unrolled: 1-line block ×3, first 2 shown]
	v_sub_f16_e32 v9, v9, v12
	v_sub_f16_e32 v11, v1, v3
	;; [unrolled: 1-line block ×3, first 2 shown]
	v_add_f16_e32 v11, v11, v12
	v_lshrrev_b32_e32 v0, 16, v0
	v_add_f16_e32 v12, v3, v4
	v_sub_f16_e32 v7, v7, v36
	v_fma_f16 v12, v12, -0.5, v0
	v_fma_f16 v13, v7, s7, v12
	v_fma_f16 v12, v7, s5, v12
	;; [unrolled: 1-line block ×6, first 2 shown]
	v_add_f16_e32 v12, v1, v14
	v_fma_f16 v12, v12, -0.5, v0
	v_add_f16_e32 v0, v0, v1
	v_add_f16_e32 v0, v0, v3
	v_sub_f16_e32 v1, v3, v1
	v_add_f16_e32 v0, v0, v4
	v_sub_f16_e32 v3, v4, v14
	v_add_f16_e32 v6, v6, v36
	v_add_f16_e32 v0, v0, v14
	;; [unrolled: 1-line block ×3, first 2 shown]
	v_fma_f16 v3, v9, s5, v12
	v_fma_f16 v4, v9, s7, v12
	;; [unrolled: 1-line block ×3, first 2 shown]
	v_pack_b32_f16 v0, v6, v0
	v_fma_f16 v4, v7, s4, v4
	v_fma_f16 v3, v1, s6, v3
	ds_write_b32 v19, v0
	v_pack_b32_f16 v0, v8, v13
	v_fma_f16 v1, v1, s6, v4
	ds_write_b32 v19, v0 offset:3000
	v_pack_b32_f16 v0, v10, v3
	ds_write_b32 v19, v0 offset:6000
	v_pack_b32_f16 v0, v5, v1
	;; [unrolled: 2-line block ×3, first 2 shown]
	ds_write_b32 v19, v0 offset:12000
	s_waitcnt lgkmcnt(0)
	s_barrier
	ds_read_b32 v12, v37
	s_add_u32 s6, s12, 0x3a8c
	v_sub_u32_e32 v2, 0, v32
	s_addc_u32 s7, s13, 0
                                        ; implicit-def: $vgpr7
                                        ; implicit-def: $vgpr6
                                        ; implicit-def: $vgpr11
                                        ; implicit-def: $vgpr0_vgpr1
	s_and_saveexec_b64 s[4:5], vcc
	s_xor_b64 s[4:5], exec, s[4:5]
	s_cbranch_execz .LBB0_15
; %bb.14:
	v_mov_b32_e32 v19, v34
	v_lshlrev_b64 v[0:1], 2, v[18:19]
	v_mov_b32_e32 v3, s7
	v_add_co_u32_e32 v0, vcc, s6, v0
	v_addc_co_u32_e32 v1, vcc, v3, v1, vcc
	global_load_dword v0, v[0:1], off
	ds_read_b32 v1, v2 offset:15000
	s_waitcnt lgkmcnt(0)
	v_sub_f16_e32 v5, v12, v1
	v_add_f16_e32 v3, v1, v12
	v_add_f16_sdwa v4, v1, v12 dst_sel:DWORD dst_unused:UNUSED_PAD src0_sel:WORD_1 src1_sel:WORD_1
	v_sub_f16_sdwa v1, v12, v1 dst_sel:DWORD dst_unused:UNUSED_PAD src0_sel:WORD_1 src1_sel:WORD_1
	v_mul_f16_e32 v5, 0.5, v5
	v_mul_f16_e32 v4, 0.5, v4
	;; [unrolled: 1-line block ×3, first 2 shown]
                                        ; implicit-def: $vgpr12
	s_waitcnt vmcnt(0)
	v_lshrrev_b32_e32 v6, 16, v0
	v_mul_f16_e32 v7, v6, v5
	v_fma_f16 v8, v4, v6, v1
	v_fma_f16 v1, v4, v6, -v1
	v_fma_f16 v6, v3, 0.5, v7
	v_fma_f16 v3, v3, 0.5, -v7
	v_fma_f16 v7, -v0, v5, v1
	v_fma_f16 v1, v0, v4, v6
	v_fma_f16 v11, -v0, v5, v8
	v_fma_f16 v6, -v0, v4, v3
	ds_write_b16 v37, v1
	v_mov_b32_e32 v0, v18
	v_mov_b32_e32 v1, v19
.LBB0_15:
	s_or_saveexec_b64 s[4:5], s[4:5]
	v_sub_u32_e32 v3, 0, v21
	v_sub_u32_e32 v10, 0, v43
	;; [unrolled: 1-line block ×6, first 2 shown]
	s_xor_b64 exec, exec, s[4:5]
	s_cbranch_execz .LBB0_17
; %bb.16:
	v_mov_b32_e32 v11, 0
	ds_read_u16 v7, v11 offset:7502
	v_mov_b32_e32 v0, 0
	s_waitcnt lgkmcnt(1)
	v_add_f16_sdwa v13, v12, v12 dst_sel:DWORD dst_unused:UNUSED_PAD src0_sel:WORD_1 src1_sel:DWORD
	v_sub_f16_sdwa v6, v12, v12 dst_sel:DWORD dst_unused:UNUSED_PAD src0_sel:DWORD src1_sel:WORD_1
	v_mov_b32_e32 v1, 0
	s_waitcnt lgkmcnt(0)
	v_xor_b32_e32 v7, 0x8000, v7
	ds_write_b16 v11, v7 offset:7502
	v_mov_b32_e32 v7, 0
	ds_write_b16 v37, v13
.LBB0_17:
	s_or_b64 exec, exec, s[4:5]
	v_mov_b32_e32 v21, 0
	s_waitcnt lgkmcnt(0)
	v_lshlrev_b64 v[12:13], 2, v[20:21]
	v_mov_b32_e32 v14, s7
	v_add_co_u32_e32 v12, vcc, s6, v12
	v_addc_co_u32_e32 v13, vcc, v14, v13, vcc
	global_load_dword v14, v[12:13], off
	v_mov_b32_e32 v32, v21
	v_lshlrev_b64 v[12:13], 2, v[31:32]
	v_mov_b32_e32 v15, s7
	v_add_co_u32_e32 v12, vcc, s6, v12
	v_addc_co_u32_e32 v13, vcc, v15, v13, vcc
	global_load_dword v13, v[12:13], off
	v_mov_b32_e32 v31, v21
	ds_write_b16 v37, v11 offset:2
	v_lshlrev_b64 v[11:12], 2, v[30:31]
	s_mov_b32 s5, 0x5040100
	v_add_co_u32_e32 v11, vcc, s6, v11
	v_addc_co_u32_e32 v12, vcc, v15, v12, vcc
	global_load_dword v12, v[11:12], off
	v_add_u32_e32 v15, v26, v10
	v_perm_b32 v6, v7, v6, s5
	v_mov_b32_e32 v26, v21
	ds_write_b32 v2, v6 offset:15000
	v_lshlrev_b64 v[6:7], 2, v[25:26]
	v_mov_b32_e32 v31, s7
	v_add_co_u32_e32 v6, vcc, s6, v6
	v_addc_co_u32_e32 v7, vcc, v31, v7, vcc
	global_load_dword v26, v[6:7], off
	ds_read_b32 v34, v2 offset:14500
	ds_read_b32 v25, v15
	s_mov_b32 s4, 0xffff
	v_add_u32_e32 v19, v28, v8
	v_mov_b32_e32 v28, v21
	v_add_u32_e32 v20, v41, v9
	s_waitcnt lgkmcnt(0)
	v_pk_add_f16 v6, v25, v34 neg_lo:[0,1] neg_hi:[0,1]
	v_pk_add_f16 v7, v25, v34
	v_bfi_b32 v25, s4, v6, v7
	v_bfi_b32 v6, s4, v7, v6
	v_pk_mul_f16 v7, v25, 0.5 op_sel_hi:[1,0]
	v_pk_mul_f16 v6, v6, 0.5 op_sel_hi:[1,0]
	v_lshlrev_b64 v[8:9], 2, v[27:28]
	v_mov_b32_e32 v32, s7
	v_mov_b32_e32 v30, v21
	v_lshlrev_b64 v[10:11], 2, v[29:30]
	v_mov_b32_e32 v33, s7
	v_add_u32_e32 v5, v40, v5
	v_lshlrev_b64 v[0:1], 2, v[0:1]
	v_add_u32_e32 v4, v39, v4
	s_movk_i32 s5, 0x1000
	s_waitcnt vmcnt(3)
	v_pk_fma_f16 v25, v14, v7, v6 op_sel:[1,0,0]
	v_pk_mul_f16 v27, v14, v7 op_sel_hi:[0,1]
	v_pk_fma_f16 v28, v14, v7, v6 op_sel:[1,0,0] neg_lo:[1,0,0] neg_hi:[1,0,0]
	v_pk_fma_f16 v6, v14, v7, v6 op_sel:[1,0,0] neg_lo:[0,0,1] neg_hi:[0,0,1]
	v_pk_add_f16 v7, v25, v27 op_sel:[0,1] op_sel_hi:[1,0]
	v_pk_add_f16 v14, v25, v27 op_sel:[0,1] op_sel_hi:[1,0] neg_lo:[0,1] neg_hi:[0,1]
	v_pk_add_f16 v25, v28, v27 op_sel:[0,1] op_sel_hi:[1,0] neg_lo:[0,1] neg_hi:[0,1]
	;; [unrolled: 1-line block ×3, first 2 shown]
	v_bfi_b32 v7, s4, v7, v14
	v_bfi_b32 v6, s4, v25, v6
	ds_write_b32 v15, v7
	ds_write_b32 v2, v6 offset:14500
	v_add_co_u32_e32 v6, vcc, s6, v8
	v_addc_co_u32_e32 v7, vcc, v32, v9, vcc
	ds_read_b32 v14, v19
	ds_read_b32 v15, v2 offset:14000
	global_load_dword v8, v[6:7], off
	v_mov_b32_e32 v25, v21
	s_waitcnt lgkmcnt(0)
	v_pk_add_f16 v6, v14, v15 neg_lo:[0,1] neg_hi:[0,1]
	v_pk_add_f16 v7, v14, v15
	v_bfi_b32 v9, s4, v6, v7
	v_bfi_b32 v6, s4, v7, v6
	v_pk_mul_f16 v7, v9, 0.5 op_sel_hi:[1,0]
	v_pk_mul_f16 v6, v6, 0.5 op_sel_hi:[1,0]
	s_waitcnt vmcnt(3)
	v_pk_fma_f16 v9, v13, v7, v6 op_sel:[1,0,0]
	v_pk_mul_f16 v14, v13, v7 op_sel_hi:[0,1]
	v_pk_fma_f16 v15, v13, v7, v6 op_sel:[1,0,0] neg_lo:[1,0,0] neg_hi:[1,0,0]
	v_pk_fma_f16 v6, v13, v7, v6 op_sel:[1,0,0] neg_lo:[0,0,1] neg_hi:[0,0,1]
	v_pk_add_f16 v7, v9, v14 op_sel:[0,1] op_sel_hi:[1,0]
	v_pk_add_f16 v9, v9, v14 op_sel:[0,1] op_sel_hi:[1,0] neg_lo:[0,1] neg_hi:[0,1]
	v_pk_add_f16 v13, v15, v14 op_sel:[0,1] op_sel_hi:[1,0] neg_lo:[0,1] neg_hi:[0,1]
	;; [unrolled: 1-line block ×3, first 2 shown]
	v_bfi_b32 v7, s4, v7, v9
	v_bfi_b32 v6, s4, v13, v6
	ds_write_b32 v19, v7
	ds_write_b32 v2, v6 offset:14000
	v_add_co_u32_e32 v6, vcc, s6, v10
	v_addc_co_u32_e32 v7, vcc, v33, v11, vcc
	ds_read_b32 v9, v20
	ds_read_b32 v13, v2 offset:13500
	global_load_dword v6, v[6:7], off
	v_add_co_u32_e32 v0, vcc, s6, v0
	s_waitcnt lgkmcnt(0)
	v_pk_add_f16 v7, v9, v13 neg_lo:[0,1] neg_hi:[0,1]
	v_pk_add_f16 v9, v9, v13
	v_bfi_b32 v10, s4, v7, v9
	v_bfi_b32 v7, s4, v9, v7
	v_pk_mul_f16 v9, v10, 0.5 op_sel_hi:[1,0]
	v_pk_mul_f16 v7, v7, 0.5 op_sel_hi:[1,0]
	s_waitcnt vmcnt(3)
	v_pk_fma_f16 v10, v12, v9, v7 op_sel:[1,0,0]
	v_pk_mul_f16 v11, v12, v9 op_sel_hi:[0,1]
	v_pk_fma_f16 v13, v12, v9, v7 op_sel:[1,0,0] neg_lo:[1,0,0] neg_hi:[1,0,0]
	v_pk_fma_f16 v7, v12, v9, v7 op_sel:[1,0,0] neg_lo:[0,0,1] neg_hi:[0,0,1]
	v_pk_add_f16 v14, v10, v11 op_sel:[0,1] op_sel_hi:[1,0]
	v_pk_add_f16 v10, v10, v11 op_sel:[0,1] op_sel_hi:[1,0] neg_lo:[0,1] neg_hi:[0,1]
	v_pk_add_f16 v13, v13, v11 op_sel:[0,1] op_sel_hi:[1,0] neg_lo:[0,1] neg_hi:[0,1]
	;; [unrolled: 1-line block ×3, first 2 shown]
	v_bfi_b32 v10, s4, v14, v10
	v_bfi_b32 v7, s4, v13, v7
	ds_write_b32 v20, v10
	ds_write_b32 v2, v7 offset:13500
	ds_read_b32 v7, v5
	ds_read_b32 v9, v2 offset:13000
	v_mov_b32_e32 v14, s7
	s_waitcnt lgkmcnt(0)
	v_pk_add_f16 v10, v7, v9 neg_lo:[0,1] neg_hi:[0,1]
	v_pk_add_f16 v7, v7, v9
	v_bfi_b32 v9, s4, v10, v7
	v_bfi_b32 v7, s4, v7, v10
	v_pk_mul_f16 v9, v9, 0.5 op_sel_hi:[1,0]
	v_pk_mul_f16 v7, v7, 0.5 op_sel_hi:[1,0]
	s_waitcnt vmcnt(2)
	v_pk_fma_f16 v10, v26, v9, v7 op_sel:[1,0,0]
	v_pk_mul_f16 v11, v26, v9 op_sel_hi:[0,1]
	v_pk_add_f16 v12, v10, v11 op_sel:[0,1] op_sel_hi:[1,0]
	v_pk_add_f16 v10, v10, v11 op_sel:[0,1] op_sel_hi:[1,0] neg_lo:[0,1] neg_hi:[0,1]
	v_bfi_b32 v10, s4, v12, v10
	ds_write_b32 v5, v10
	v_pk_fma_f16 v5, v26, v9, v7 op_sel:[1,0,0] neg_lo:[1,0,0] neg_hi:[1,0,0]
	v_pk_fma_f16 v7, v26, v9, v7 op_sel:[1,0,0] neg_lo:[0,0,1] neg_hi:[0,0,1]
	v_pk_add_f16 v5, v5, v11 op_sel:[0,1] op_sel_hi:[1,0] neg_lo:[0,1] neg_hi:[0,1]
	v_pk_add_f16 v7, v7, v11 op_sel:[0,1] op_sel_hi:[1,0] neg_lo:[0,1] neg_hi:[0,1]
	v_bfi_b32 v5, s4, v5, v7
	v_mov_b32_e32 v7, s7
	v_addc_co_u32_e32 v1, vcc, v7, v1, vcc
	global_load_dword v7, v[0:1], off offset:3500
	ds_write_b32 v2, v5 offset:13000
	ds_read_b32 v5, v4
	ds_read_b32 v9, v2 offset:12500
	s_waitcnt lgkmcnt(0)
	v_pk_add_f16 v10, v5, v9 neg_lo:[0,1] neg_hi:[0,1]
	v_pk_add_f16 v5, v5, v9
	v_bfi_b32 v9, s4, v10, v5
	v_bfi_b32 v5, s4, v5, v10
	v_pk_mul_f16 v9, v9, 0.5 op_sel_hi:[1,0]
	v_pk_mul_f16 v5, v5, 0.5 op_sel_hi:[1,0]
	s_waitcnt vmcnt(2)
	v_pk_fma_f16 v10, v8, v9, v5 op_sel:[1,0,0]
	v_pk_mul_f16 v11, v8, v9 op_sel_hi:[0,1]
	v_pk_add_f16 v12, v10, v11 op_sel:[0,1] op_sel_hi:[1,0]
	v_pk_add_f16 v10, v10, v11 op_sel:[0,1] op_sel_hi:[1,0] neg_lo:[0,1] neg_hi:[0,1]
	v_bfi_b32 v10, s4, v12, v10
	ds_write_b32 v4, v10
	v_pk_fma_f16 v4, v8, v9, v5 op_sel:[1,0,0] neg_lo:[1,0,0] neg_hi:[1,0,0]
	v_pk_fma_f16 v5, v8, v9, v5 op_sel:[1,0,0] neg_lo:[0,0,1] neg_hi:[0,0,1]
	v_pk_add_f16 v4, v4, v11 op_sel:[0,1] op_sel_hi:[1,0] neg_lo:[0,1] neg_hi:[0,1]
	v_pk_add_f16 v5, v5, v11 op_sel:[0,1] op_sel_hi:[1,0] neg_lo:[0,1] neg_hi:[0,1]
	v_bfi_b32 v4, s4, v4, v5
	global_load_dword v5, v[0:1], off offset:4000
	ds_write_b32 v2, v4 offset:12500
	v_add_u32_e32 v8, v38, v3
	ds_read_b32 v3, v8
	ds_read_b32 v4, v2 offset:12000
	s_waitcnt lgkmcnt(0)
	v_pk_add_f16 v9, v3, v4 neg_lo:[0,1] neg_hi:[0,1]
	v_pk_add_f16 v3, v3, v4
	v_bfi_b32 v4, s4, v9, v3
	v_bfi_b32 v3, s4, v3, v9
	v_pk_mul_f16 v9, v4, 0.5 op_sel_hi:[1,0]
	v_pk_mul_f16 v10, v3, 0.5 op_sel_hi:[1,0]
	v_lshlrev_b64 v[3:4], 2, v[24:25]
	s_waitcnt vmcnt(2)
	v_pk_fma_f16 v11, v6, v9, v10 op_sel:[1,0,0]
	v_add_co_u32_e32 v3, vcc, s6, v3
	v_addc_co_u32_e32 v4, vcc, v14, v4, vcc
	global_load_dword v3, v[3:4], off
	v_pk_mul_f16 v12, v6, v9 op_sel_hi:[0,1]
	v_pk_add_f16 v13, v11, v12 op_sel:[0,1] op_sel_hi:[1,0]
	v_pk_add_f16 v4, v11, v12 op_sel:[0,1] op_sel_hi:[1,0] neg_lo:[0,1] neg_hi:[0,1]
	v_bfi_b32 v4, s4, v13, v4
	ds_write_b32 v8, v4
	v_pk_fma_f16 v4, v6, v9, v10 op_sel:[1,0,0] neg_lo:[1,0,0] neg_hi:[1,0,0]
	v_pk_fma_f16 v6, v6, v9, v10 op_sel:[1,0,0] neg_lo:[0,0,1] neg_hi:[0,0,1]
	v_pk_add_f16 v4, v4, v12 op_sel:[0,1] op_sel_hi:[1,0] neg_lo:[0,1] neg_hi:[0,1]
	v_pk_add_f16 v6, v6, v12 op_sel:[0,1] op_sel_hi:[1,0] neg_lo:[0,1] neg_hi:[0,1]
	v_bfi_b32 v4, s4, v4, v6
	v_add_co_u32_e32 v0, vcc, s5, v0
	ds_write_b32 v2, v4 offset:12000
	v_addc_co_u32_e32 v1, vcc, 0, v1, vcc
	ds_read_b32 v4, v37 offset:3500
	ds_read_b32 v6, v2 offset:11500
	global_load_dword v9, v[0:1], off offset:904
	s_waitcnt lgkmcnt(0)
	v_pk_add_f16 v8, v4, v6 neg_lo:[0,1] neg_hi:[0,1]
	v_pk_add_f16 v4, v4, v6
	v_bfi_b32 v6, s4, v8, v4
	v_bfi_b32 v4, s4, v4, v8
	global_load_dword v8, v[0:1], off offset:1404
	global_load_dword v10, v[0:1], off offset:1904
	;; [unrolled: 1-line block ×4, first 2 shown]
	v_pk_mul_f16 v6, v6, 0.5 op_sel_hi:[1,0]
	v_pk_mul_f16 v4, v4, 0.5 op_sel_hi:[1,0]
	s_waitcnt vmcnt(7)
	v_pk_fma_f16 v0, v7, v6, v4 op_sel:[1,0,0]
	v_pk_mul_f16 v1, v7, v6 op_sel_hi:[0,1]
	v_pk_add_f16 v13, v0, v1 op_sel:[0,1] op_sel_hi:[1,0]
	v_pk_add_f16 v0, v0, v1 op_sel:[0,1] op_sel_hi:[1,0] neg_lo:[0,1] neg_hi:[0,1]
	v_bfi_b32 v0, s4, v13, v0
	ds_write_b32 v37, v0 offset:3500
	v_pk_fma_f16 v0, v7, v6, v4 op_sel:[1,0,0] neg_lo:[1,0,0] neg_hi:[1,0,0]
	v_pk_fma_f16 v4, v7, v6, v4 op_sel:[1,0,0] neg_lo:[0,0,1] neg_hi:[0,0,1]
	v_pk_add_f16 v0, v0, v1 op_sel:[0,1] op_sel_hi:[1,0] neg_lo:[0,1] neg_hi:[0,1]
	v_pk_add_f16 v1, v4, v1 op_sel:[0,1] op_sel_hi:[1,0] neg_lo:[0,1] neg_hi:[0,1]
	v_bfi_b32 v0, s4, v0, v1
	ds_write_b32 v2, v0 offset:11500
	ds_read_b32 v0, v37 offset:4000
	ds_read_b32 v1, v2 offset:11000
	s_waitcnt lgkmcnt(0)
	v_pk_add_f16 v4, v0, v1 neg_lo:[0,1] neg_hi:[0,1]
	v_pk_add_f16 v0, v0, v1
	v_bfi_b32 v1, s4, v4, v0
	v_bfi_b32 v0, s4, v0, v4
	v_pk_mul_f16 v1, v1, 0.5 op_sel_hi:[1,0]
	v_pk_mul_f16 v0, v0, 0.5 op_sel_hi:[1,0]
	s_waitcnt vmcnt(6)
	v_pk_fma_f16 v4, v5, v1, v0 op_sel:[1,0,0]
	v_pk_mul_f16 v6, v5, v1 op_sel_hi:[0,1]
	v_pk_add_f16 v7, v4, v6 op_sel:[0,1] op_sel_hi:[1,0]
	v_pk_add_f16 v4, v4, v6 op_sel:[0,1] op_sel_hi:[1,0] neg_lo:[0,1] neg_hi:[0,1]
	v_bfi_b32 v4, s4, v7, v4
	ds_write_b32 v37, v4 offset:4000
	v_pk_fma_f16 v4, v5, v1, v0 op_sel:[1,0,0] neg_lo:[1,0,0] neg_hi:[1,0,0]
	v_pk_fma_f16 v0, v5, v1, v0 op_sel:[1,0,0] neg_lo:[0,0,1] neg_hi:[0,0,1]
	v_pk_add_f16 v4, v4, v6 op_sel:[0,1] op_sel_hi:[1,0] neg_lo:[0,1] neg_hi:[0,1]
	v_pk_add_f16 v0, v0, v6 op_sel:[0,1] op_sel_hi:[1,0] neg_lo:[0,1] neg_hi:[0,1]
	v_bfi_b32 v0, s4, v4, v0
	ds_write_b32 v2, v0 offset:11000
	ds_read_b32 v0, v75
	ds_read_b32 v1, v2 offset:10500
	s_waitcnt lgkmcnt(0)
	v_pk_add_f16 v4, v0, v1 neg_lo:[0,1] neg_hi:[0,1]
	v_pk_add_f16 v0, v0, v1
	v_bfi_b32 v1, s4, v4, v0
	v_bfi_b32 v0, s4, v0, v4
	v_pk_mul_f16 v1, v1, 0.5 op_sel_hi:[1,0]
	v_pk_mul_f16 v0, v0, 0.5 op_sel_hi:[1,0]
	s_waitcnt vmcnt(5)
	v_pk_fma_f16 v4, v3, v1, v0 op_sel:[1,0,0]
	v_pk_mul_f16 v5, v3, v1 op_sel_hi:[0,1]
	v_pk_add_f16 v6, v4, v5 op_sel:[0,1] op_sel_hi:[1,0]
	v_pk_add_f16 v4, v4, v5 op_sel:[0,1] op_sel_hi:[1,0] neg_lo:[0,1] neg_hi:[0,1]
	v_bfi_b32 v4, s4, v6, v4
	ds_write_b32 v75, v4
	v_pk_fma_f16 v4, v3, v1, v0 op_sel:[1,0,0] neg_lo:[1,0,0] neg_hi:[1,0,0]
	v_pk_fma_f16 v0, v3, v1, v0 op_sel:[1,0,0] neg_lo:[0,0,1] neg_hi:[0,0,1]
	v_pk_add_f16 v4, v4, v5 op_sel:[0,1] op_sel_hi:[1,0] neg_lo:[0,1] neg_hi:[0,1]
	v_pk_add_f16 v0, v0, v5 op_sel:[0,1] op_sel_hi:[1,0] neg_lo:[0,1] neg_hi:[0,1]
	v_bfi_b32 v0, s4, v4, v0
	ds_write_b32 v2, v0 offset:10500
	ds_read_b32 v0, v37 offset:5000
	ds_read_b32 v1, v2 offset:10000
	s_waitcnt lgkmcnt(0)
	v_pk_add_f16 v3, v0, v1 neg_lo:[0,1] neg_hi:[0,1]
	v_pk_add_f16 v0, v0, v1
	v_bfi_b32 v1, s4, v3, v0
	v_bfi_b32 v0, s4, v0, v3
	v_pk_mul_f16 v1, v1, 0.5 op_sel_hi:[1,0]
	v_pk_mul_f16 v0, v0, 0.5 op_sel_hi:[1,0]
	s_waitcnt vmcnt(4)
	v_pk_fma_f16 v3, v9, v1, v0 op_sel:[1,0,0]
	v_pk_mul_f16 v4, v9, v1 op_sel_hi:[0,1]
	v_pk_add_f16 v5, v3, v4 op_sel:[0,1] op_sel_hi:[1,0]
	v_pk_add_f16 v3, v3, v4 op_sel:[0,1] op_sel_hi:[1,0] neg_lo:[0,1] neg_hi:[0,1]
	v_bfi_b32 v3, s4, v5, v3
	ds_write_b32 v37, v3 offset:5000
	v_pk_fma_f16 v3, v9, v1, v0 op_sel:[1,0,0] neg_lo:[1,0,0] neg_hi:[1,0,0]
	v_pk_fma_f16 v0, v9, v1, v0 op_sel:[1,0,0] neg_lo:[0,0,1] neg_hi:[0,0,1]
	v_pk_add_f16 v3, v3, v4 op_sel:[0,1] op_sel_hi:[1,0] neg_lo:[0,1] neg_hi:[0,1]
	v_pk_add_f16 v0, v0, v4 op_sel:[0,1] op_sel_hi:[1,0] neg_lo:[0,1] neg_hi:[0,1]
	v_bfi_b32 v0, s4, v3, v0
	ds_write_b32 v2, v0 offset:10000
	ds_read_b32 v0, v37 offset:5500
	ds_read_b32 v1, v2 offset:9500
	s_waitcnt lgkmcnt(0)
	v_pk_add_f16 v3, v0, v1 neg_lo:[0,1] neg_hi:[0,1]
	v_pk_add_f16 v0, v0, v1
	v_bfi_b32 v1, s4, v3, v0
	v_bfi_b32 v0, s4, v0, v3
	v_pk_mul_f16 v1, v1, 0.5 op_sel_hi:[1,0]
	v_pk_mul_f16 v0, v0, 0.5 op_sel_hi:[1,0]
	s_waitcnt vmcnt(3)
	v_pk_fma_f16 v3, v8, v1, v0 op_sel:[1,0,0]
	v_pk_mul_f16 v4, v8, v1 op_sel_hi:[0,1]
	v_pk_add_f16 v5, v3, v4 op_sel:[0,1] op_sel_hi:[1,0]
	v_pk_add_f16 v3, v3, v4 op_sel:[0,1] op_sel_hi:[1,0] neg_lo:[0,1] neg_hi:[0,1]
	v_bfi_b32 v3, s4, v5, v3
	ds_write_b32 v37, v3 offset:5500
	;; [unrolled: 22-line block ×5, first 2 shown]
	v_pk_fma_f16 v3, v12, v1, v0 op_sel:[1,0,0] neg_lo:[1,0,0] neg_hi:[1,0,0]
	v_pk_fma_f16 v0, v12, v1, v0 op_sel:[1,0,0] neg_lo:[0,0,1] neg_hi:[0,0,1]
	v_pk_add_f16 v3, v3, v4 op_sel:[0,1] op_sel_hi:[1,0] neg_lo:[0,1] neg_hi:[0,1]
	v_pk_add_f16 v0, v0, v4 op_sel:[0,1] op_sel_hi:[1,0] neg_lo:[0,1] neg_hi:[0,1]
	v_bfi_b32 v0, s4, v3, v0
	ds_write_b32 v2, v0 offset:8000
	s_waitcnt lgkmcnt(0)
	s_barrier
	s_and_saveexec_b64 s[4:5], s[0:1]
	s_cbranch_execz .LBB0_20
; %bb.18:
	v_mul_lo_u32 v2, s3, v22
	v_mul_lo_u32 v3, s2, v23
	v_mad_u64_u32 v[0:1], s[0:1], s2, v22, 0
	v_mov_b32_e32 v4, s11
	v_lshl_add_u32 v6, v18, 2, 0
	v_add3_u32 v1, v1, v3, v2
	v_lshlrev_b64 v[0:1], 2, v[0:1]
	v_mov_b32_e32 v19, v21
	v_add_co_u32_e32 v0, vcc, s10, v0
	v_addc_co_u32_e32 v7, vcc, v4, v1, vcc
	v_lshlrev_b64 v[4:5], 2, v[16:17]
	ds_read2_b32 v[2:3], v6 offset1:125
	v_add_co_u32_e32 v1, vcc, v0, v4
	v_addc_co_u32_e32 v0, vcc, v7, v5, vcc
	v_lshlrev_b64 v[4:5], 2, v[18:19]
	v_add_u32_e32 v20, 0x7d, v18
	v_add_co_u32_e32 v4, vcc, v1, v4
	v_addc_co_u32_e32 v5, vcc, v0, v5, vcc
	s_waitcnt lgkmcnt(0)
	global_store_dword v[4:5], v2, off
	v_lshlrev_b64 v[4:5], 2, v[20:21]
	v_add_u32_e32 v2, 0x200, v6
	v_add_co_u32_e32 v4, vcc, v1, v4
	v_addc_co_u32_e32 v5, vcc, v0, v5, vcc
	global_store_dword v[4:5], v3, off
	v_add_u32_e32 v20, 0xfa, v18
	ds_read2_b32 v[2:3], v2 offset0:122 offset1:247
	v_lshlrev_b64 v[4:5], 2, v[20:21]
	v_add_u32_e32 v20, 0x177, v18
	v_add_co_u32_e32 v4, vcc, v1, v4
	v_addc_co_u32_e32 v5, vcc, v0, v5, vcc
	s_waitcnt lgkmcnt(0)
	global_store_dword v[4:5], v2, off
	v_lshlrev_b64 v[4:5], 2, v[20:21]
	v_add_u32_e32 v2, 0x600, v6
	v_add_co_u32_e32 v4, vcc, v1, v4
	v_addc_co_u32_e32 v5, vcc, v0, v5, vcc
	global_store_dword v[4:5], v3, off
	v_add_u32_e32 v20, 0x1f4, v18
	ds_read2_b32 v[2:3], v2 offset0:116 offset1:241
	;; [unrolled: 13-line block ×14, first 2 shown]
	v_lshlrev_b64 v[4:5], 2, v[20:21]
	v_add_u32_e32 v20, 0xe29, v18
	v_add_co_u32_e32 v4, vcc, v1, v4
	v_addc_co_u32_e32 v5, vcc, v0, v5, vcc
	s_waitcnt lgkmcnt(0)
	global_store_dword v[4:5], v2, off
	v_lshlrev_b64 v[4:5], 2, v[20:21]
	s_movk_i32 s0, 0x7c
	v_add_co_u32_e32 v4, vcc, v1, v4
	v_addc_co_u32_e32 v5, vcc, v0, v5, vcc
	v_cmp_eq_u32_e32 vcc, s0, v18
	global_store_dword v[4:5], v3, off
	s_and_b64 exec, exec, vcc
	s_cbranch_execz .LBB0_20
; %bb.19:
	v_mov_b32_e32 v2, 0
	ds_read_b32 v3, v2 offset:15000
	v_add_co_u32_e32 v1, vcc, 0x3000, v1
	v_addc_co_u32_e32 v2, vcc, 0, v0, vcc
	s_waitcnt lgkmcnt(0)
	global_store_dword v[1:2], v3, off offset:2712
.LBB0_20:
	s_endpgm
	.section	.rodata,"a",@progbits
	.p2align	6, 0x0
	.amdhsa_kernel fft_rtc_back_len3750_factors_3_5_5_10_5_wgs_125_tpt_125_halfLds_half_op_CI_CI_unitstride_sbrr_R2C_dirReg
		.amdhsa_group_segment_fixed_size 0
		.amdhsa_private_segment_fixed_size 0
		.amdhsa_kernarg_size 104
		.amdhsa_user_sgpr_count 6
		.amdhsa_user_sgpr_private_segment_buffer 1
		.amdhsa_user_sgpr_dispatch_ptr 0
		.amdhsa_user_sgpr_queue_ptr 0
		.amdhsa_user_sgpr_kernarg_segment_ptr 1
		.amdhsa_user_sgpr_dispatch_id 0
		.amdhsa_user_sgpr_flat_scratch_init 0
		.amdhsa_user_sgpr_private_segment_size 0
		.amdhsa_uses_dynamic_stack 0
		.amdhsa_system_sgpr_private_segment_wavefront_offset 0
		.amdhsa_system_sgpr_workgroup_id_x 1
		.amdhsa_system_sgpr_workgroup_id_y 0
		.amdhsa_system_sgpr_workgroup_id_z 0
		.amdhsa_system_sgpr_workgroup_info 0
		.amdhsa_system_vgpr_workitem_id 0
		.amdhsa_next_free_vgpr 137
		.amdhsa_next_free_sgpr 28
		.amdhsa_reserve_vcc 1
		.amdhsa_reserve_flat_scratch 0
		.amdhsa_float_round_mode_32 0
		.amdhsa_float_round_mode_16_64 0
		.amdhsa_float_denorm_mode_32 3
		.amdhsa_float_denorm_mode_16_64 3
		.amdhsa_dx10_clamp 1
		.amdhsa_ieee_mode 1
		.amdhsa_fp16_overflow 0
		.amdhsa_exception_fp_ieee_invalid_op 0
		.amdhsa_exception_fp_denorm_src 0
		.amdhsa_exception_fp_ieee_div_zero 0
		.amdhsa_exception_fp_ieee_overflow 0
		.amdhsa_exception_fp_ieee_underflow 0
		.amdhsa_exception_fp_ieee_inexact 0
		.amdhsa_exception_int_div_zero 0
	.end_amdhsa_kernel
	.text
.Lfunc_end0:
	.size	fft_rtc_back_len3750_factors_3_5_5_10_5_wgs_125_tpt_125_halfLds_half_op_CI_CI_unitstride_sbrr_R2C_dirReg, .Lfunc_end0-fft_rtc_back_len3750_factors_3_5_5_10_5_wgs_125_tpt_125_halfLds_half_op_CI_CI_unitstride_sbrr_R2C_dirReg
                                        ; -- End function
	.section	.AMDGPU.csdata,"",@progbits
; Kernel info:
; codeLenInByte = 24088
; NumSgprs: 32
; NumVgprs: 137
; ScratchSize: 0
; MemoryBound: 0
; FloatMode: 240
; IeeeMode: 1
; LDSByteSize: 0 bytes/workgroup (compile time only)
; SGPRBlocks: 3
; VGPRBlocks: 34
; NumSGPRsForWavesPerEU: 32
; NumVGPRsForWavesPerEU: 137
; Occupancy: 1
; WaveLimiterHint : 1
; COMPUTE_PGM_RSRC2:SCRATCH_EN: 0
; COMPUTE_PGM_RSRC2:USER_SGPR: 6
; COMPUTE_PGM_RSRC2:TRAP_HANDLER: 0
; COMPUTE_PGM_RSRC2:TGID_X_EN: 1
; COMPUTE_PGM_RSRC2:TGID_Y_EN: 0
; COMPUTE_PGM_RSRC2:TGID_Z_EN: 0
; COMPUTE_PGM_RSRC2:TIDIG_COMP_CNT: 0
	.type	__hip_cuid_cc8765762b249aeb,@object ; @__hip_cuid_cc8765762b249aeb
	.section	.bss,"aw",@nobits
	.globl	__hip_cuid_cc8765762b249aeb
__hip_cuid_cc8765762b249aeb:
	.byte	0                               ; 0x0
	.size	__hip_cuid_cc8765762b249aeb, 1

	.ident	"AMD clang version 19.0.0git (https://github.com/RadeonOpenCompute/llvm-project roc-6.4.0 25133 c7fe45cf4b819c5991fe208aaa96edf142730f1d)"
	.section	".note.GNU-stack","",@progbits
	.addrsig
	.addrsig_sym __hip_cuid_cc8765762b249aeb
	.amdgpu_metadata
---
amdhsa.kernels:
  - .args:
      - .actual_access:  read_only
        .address_space:  global
        .offset:         0
        .size:           8
        .value_kind:     global_buffer
      - .offset:         8
        .size:           8
        .value_kind:     by_value
      - .actual_access:  read_only
        .address_space:  global
        .offset:         16
        .size:           8
        .value_kind:     global_buffer
      - .actual_access:  read_only
        .address_space:  global
        .offset:         24
        .size:           8
        .value_kind:     global_buffer
      - .actual_access:  read_only
        .address_space:  global
        .offset:         32
        .size:           8
        .value_kind:     global_buffer
      - .offset:         40
        .size:           8
        .value_kind:     by_value
      - .actual_access:  read_only
        .address_space:  global
        .offset:         48
        .size:           8
        .value_kind:     global_buffer
      - .actual_access:  read_only
        .address_space:  global
        .offset:         56
        .size:           8
        .value_kind:     global_buffer
      - .offset:         64
        .size:           4
        .value_kind:     by_value
      - .actual_access:  read_only
        .address_space:  global
        .offset:         72
        .size:           8
        .value_kind:     global_buffer
      - .actual_access:  read_only
        .address_space:  global
        .offset:         80
        .size:           8
        .value_kind:     global_buffer
      - .actual_access:  read_only
        .address_space:  global
        .offset:         88
        .size:           8
        .value_kind:     global_buffer
      - .actual_access:  write_only
        .address_space:  global
        .offset:         96
        .size:           8
        .value_kind:     global_buffer
    .group_segment_fixed_size: 0
    .kernarg_segment_align: 8
    .kernarg_segment_size: 104
    .language:       OpenCL C
    .language_version:
      - 2
      - 0
    .max_flat_workgroup_size: 125
    .name:           fft_rtc_back_len3750_factors_3_5_5_10_5_wgs_125_tpt_125_halfLds_half_op_CI_CI_unitstride_sbrr_R2C_dirReg
    .private_segment_fixed_size: 0
    .sgpr_count:     32
    .sgpr_spill_count: 0
    .symbol:         fft_rtc_back_len3750_factors_3_5_5_10_5_wgs_125_tpt_125_halfLds_half_op_CI_CI_unitstride_sbrr_R2C_dirReg.kd
    .uniform_work_group_size: 1
    .uses_dynamic_stack: false
    .vgpr_count:     137
    .vgpr_spill_count: 0
    .wavefront_size: 64
amdhsa.target:   amdgcn-amd-amdhsa--gfx906
amdhsa.version:
  - 1
  - 2
...

	.end_amdgpu_metadata
